;; amdgpu-corpus repo=ROCm/rocFFT kind=compiled arch=gfx906 opt=O3
	.text
	.amdgcn_target "amdgcn-amd-amdhsa--gfx906"
	.amdhsa_code_object_version 6
	.protected	bluestein_single_back_len1365_dim1_sp_op_CI_CI ; -- Begin function bluestein_single_back_len1365_dim1_sp_op_CI_CI
	.globl	bluestein_single_back_len1365_dim1_sp_op_CI_CI
	.p2align	8
	.type	bluestein_single_back_len1365_dim1_sp_op_CI_CI,@function
bluestein_single_back_len1365_dim1_sp_op_CI_CI: ; @bluestein_single_back_len1365_dim1_sp_op_CI_CI
; %bb.0:
	s_load_dwordx4 s[8:11], s[4:5], 0x28
	v_mul_u32_u24_e32 v1, 0x2d1, v0
	s_mov_b64 s[22:23], s[2:3]
	v_lshrrev_b32_e32 v6, 16, v1
	s_mov_b64 s[20:21], s[0:1]
	v_lshl_add_u32 v141, s6, 1, v6
	v_mov_b32_e32 v142, 0
	s_add_u32 s20, s20, s7
	s_waitcnt lgkmcnt(0)
	v_cmp_gt_u64_e32 vcc, s[8:9], v[141:142]
	s_addc_u32 s21, s21, 0
	s_and_saveexec_b64 s[0:1], vcc
	s_cbranch_execz .LBB0_23
; %bb.1:
	s_load_dwordx4 s[0:3], s[4:5], 0x18
	v_mul_lo_u16_e32 v1, 0x5b, v6
	v_sub_u16_e32 v138, v0, v1
	v_lshlrev_b32_e32 v34, 3, v138
	v_and_b32_e32 v6, 1, v6
	s_waitcnt lgkmcnt(0)
	s_load_dwordx4 s[12:15], s[0:1], 0x0
	v_mov_b32_e32 v33, 0x555
	s_waitcnt lgkmcnt(0)
	v_mad_u64_u32 v[0:1], s[0:1], s14, v141, 0
	v_mad_u64_u32 v[2:3], s[0:1], s12, v138, 0
	;; [unrolled: 1-line block ×3, first 2 shown]
	s_load_dwordx2 s[14:15], s[4:5], 0x0
	v_mov_b32_e32 v5, s11
	v_mad_u64_u32 v[7:8], s[0:1], s13, v138, v[3:4]
	v_mov_b32_e32 v1, v4
	v_lshlrev_b64 v[0:1], 3, v[0:1]
	v_mov_b32_e32 v3, v7
	v_add_co_u32_e32 v4, vcc, s10, v0
	v_addc_co_u32_e32 v5, vcc, v5, v1, vcc
	v_lshlrev_b64 v[0:1], 3, v[2:3]
	s_waitcnt lgkmcnt(0)
	v_mov_b32_e32 v2, s15
	v_add_co_u32_e32 v0, vcc, v4, v0
	v_addc_co_u32_e32 v1, vcc, v5, v1, vcc
	v_add_co_u32_e32 v120, vcc, s14, v34
	v_addc_co_u32_e64 v121, s[0:1], 0, v2, vcc
	s_mul_i32 s0, s13, 0x69
	s_mul_hi_u32 s1, s12, 0x69
	s_add_i32 s1, s1, s0
	s_mul_i32 s0, s12, 0x69
	s_lshl_b64 s[16:17], s[0:1], 3
	v_mov_b32_e32 v31, s17
	v_add_co_u32_e64 v2, s[0:1], s16, v0
	v_addc_co_u32_e64 v3, s[0:1], v1, v31, s[0:1]
	v_add_co_u32_e64 v4, s[0:1], s16, v2
	v_addc_co_u32_e64 v5, s[0:1], v3, v31, s[0:1]
	;; [unrolled: 2-line block ×3, first 2 shown]
	global_load_dwordx2 v[9:10], v[0:1], off
	global_load_dwordx2 v[11:12], v[2:3], off
	;; [unrolled: 1-line block ×4, first 2 shown]
	global_load_dwordx2 v[159:160], v34, s[14:15]
	global_load_dwordx2 v[156:157], v34, s[14:15] offset:840
	global_load_dwordx2 v[144:145], v34, s[14:15] offset:1680
	;; [unrolled: 1-line block ×3, first 2 shown]
	v_add_co_u32_e64 v0, s[0:1], s16, v7
	v_addc_co_u32_e64 v1, s[0:1], v8, v31, s[0:1]
	v_add_co_u32_e64 v2, s[0:1], s16, v0
	v_addc_co_u32_e64 v3, s[0:1], v1, v31, s[0:1]
	s_movk_i32 s0, 0x1000
	global_load_dwordx2 v[7:8], v[0:1], off
	global_load_dwordx2 v[136:137], v34, s[14:15] offset:3360
	v_add_co_u32_e64 v0, s[0:1], s0, v120
	v_addc_co_u32_e64 v1, s[0:1], 0, v121, s[0:1]
	global_load_dwordx2 v[17:18], v[2:3], off
	v_add_co_u32_e64 v2, s[0:1], s16, v2
	v_addc_co_u32_e64 v3, s[0:1], v3, v31, s[0:1]
	global_load_dwordx2 v[19:20], v[2:3], off
	;; [unrolled: 3-line block ×3, first 2 shown]
	v_add_co_u32_e64 v2, s[0:1], s16, v2
	v_addc_co_u32_e64 v3, s[0:1], v3, v31, s[0:1]
	global_load_dwordx2 v[134:135], v[0:1], off offset:104
	global_load_dwordx2 v[23:24], v[2:3], off
	global_load_dwordx2 v[142:143], v[0:1], off offset:944
	global_load_dwordx2 v[132:133], v[0:1], off offset:1784
	;; [unrolled: 1-line block ×3, first 2 shown]
	v_add_co_u32_e64 v2, s[0:1], s16, v2
	v_addc_co_u32_e64 v3, s[0:1], v3, v31, s[0:1]
	v_add_co_u32_e64 v4, s[0:1], s16, v2
	v_addc_co_u32_e64 v5, s[0:1], v3, v31, s[0:1]
	s_movk_i32 s0, 0x2000
	global_load_dwordx2 v[25:26], v[2:3], off
	global_load_dwordx2 v[128:129], v[0:1], off offset:3464
	v_add_co_u32_e64 v2, s[0:1], s0, v120
	v_addc_co_u32_e64 v3, s[0:1], 0, v121, s[0:1]
	global_load_dwordx2 v[27:28], v[4:5], off
	v_add_co_u32_e64 v4, s[0:1], s16, v4
	global_load_dwordx2 v[126:127], v[2:3], off offset:208
	v_addc_co_u32_e64 v5, s[0:1], v5, v31, s[0:1]
	global_load_dwordx2 v[29:30], v[4:5], off
	global_load_dwordx2 v[124:125], v[2:3], off offset:1048
	v_add_co_u32_e64 v4, s[0:1], s16, v4
	v_addc_co_u32_e64 v5, s[0:1], v5, v31, s[0:1]
	global_load_dwordx2 v[31:32], v[4:5], off
	global_load_dwordx2 v[122:123], v[2:3], off offset:1888
	v_cmp_eq_u32_e64 s[0:1], 1, v6
	v_cndmask_b32_e64 v6, 0, v33, s[0:1]
	v_lshlrev_b32_e32 v6, 3, v6
	s_load_dwordx2 s[6:7], s[4:5], 0x38
	s_load_dwordx4 s[8:11], s[2:3], 0x0
	buffer_store_dword v6, off, s[20:23], 0 ; 4-byte Folded Spill
	v_add_u32_e32 v155, v6, v34
	v_cmp_gt_u16_e64 s[0:1], 14, v138
	s_waitcnt vmcnt(22)
	v_mul_f32_e32 v33, v10, v160
	v_mul_f32_e32 v6, v9, v160
	v_fmac_f32_e32 v33, v9, v159
	v_fma_f32 v34, v10, v159, -v6
	s_waitcnt vmcnt(21)
	v_mul_f32_e32 v9, v12, v157
	v_mul_f32_e32 v6, v11, v157
	v_fmac_f32_e32 v9, v11, v156
	v_fma_f32 v10, v12, v156, -v6
	s_waitcnt vmcnt(20)
	v_mul_f32_e32 v6, v13, v145
	ds_write2_b64 v155, v[33:34], v[9:10] offset1:105
	v_mul_f32_e32 v9, v14, v145
	v_fma_f32 v10, v14, v144, -v6
	s_waitcnt vmcnt(19)
	v_mul_f32_e32 v11, v16, v140
	v_mul_f32_e32 v6, v15, v140
	v_fmac_f32_e32 v9, v13, v144
	v_fmac_f32_e32 v11, v15, v139
	v_fma_f32 v12, v16, v139, -v6
	v_add_u32_e32 v6, 0x400, v155
	ds_write2_b64 v6, v[9:10], v[11:12] offset0:82 offset1:187
	s_waitcnt vmcnt(17)
	v_mul_f32_e32 v9, v8, v137
	v_fmac_f32_e32 v9, v7, v136
	v_mul_f32_e32 v7, v7, v137
	v_fma_f32 v10, v8, v136, -v7
	s_waitcnt vmcnt(11)
	v_mul_f32_e32 v8, v19, v143
	v_mul_f32_e32 v11, v18, v135
	;; [unrolled: 1-line block ×3, first 2 shown]
	v_fmac_f32_e32 v11, v17, v134
	v_fma_f32 v12, v18, v134, -v7
	v_add_u32_e32 v7, 0xc00, v155
	ds_write2_b64 v7, v[9:10], v[11:12] offset0:36 offset1:141
	v_mul_f32_e32 v9, v20, v143
	v_fma_f32 v10, v20, v142, -v8
	s_waitcnt vmcnt(10)
	v_mul_f32_e32 v11, v22, v133
	v_mul_f32_e32 v8, v21, v133
	v_fmac_f32_e32 v9, v19, v142
	v_fmac_f32_e32 v11, v21, v132
	v_fma_f32 v12, v22, v132, -v8
	v_add_u32_e32 v8, 0x1000, v155
	ds_write2_b64 v8, v[9:10], v[11:12] offset0:118 offset1:223
	s_waitcnt vmcnt(9)
	v_mul_f32_e32 v9, v23, v131
	v_mul_f32_e32 v10, v24, v131
	v_fma_f32 v11, v24, v130, -v9
	s_waitcnt vmcnt(7)
	v_mul_f32_e32 v12, v26, v129
	v_mul_f32_e32 v9, v25, v129
	v_fmac_f32_e32 v10, v23, v130
	v_fmac_f32_e32 v12, v25, v128
	v_fma_f32 v13, v26, v128, -v9
	v_add_u32_e32 v9, 0x1800, v155
	ds_write2_b64 v9, v[10:11], v[12:13] offset0:72 offset1:177
	s_waitcnt vmcnt(5)
	v_mul_f32_e32 v10, v27, v127
	;; [unrolled: 12-line block ×3, first 2 shown]
	v_mul_f32_e32 v12, v31, v123
	v_fmac_f32_e32 v11, v31, v122
	v_fma_f32 v12, v32, v122, -v12
	ds_write_b64 v155, v[11:12] offset:10080
	s_and_saveexec_b64 s[18:19], s[0:1]
	s_cbranch_execz .LBB0_3
; %bb.2:
	v_mov_b32_e32 v11, 0xffffdb78
	v_mad_u64_u32 v[4:5], s[2:3], s12, v11, v[4:5]
	s_mul_i32 s2, s13, 0xffffdb78
	s_sub_i32 s2, s2, s12
	v_add_u32_e32 v5, s2, v5
	global_load_dwordx2 v[11:12], v[4:5], off
	global_load_dwordx2 v[13:14], v[120:121], off offset:728
	v_add_co_u32_e64 v4, s[2:3], s16, v4
	v_mov_b32_e32 v19, s17
	v_addc_co_u32_e64 v5, s[2:3], v5, v19, s[2:3]
	s_waitcnt vmcnt(0)
	v_mul_f32_e32 v15, v12, v14
	v_fmac_f32_e32 v15, v11, v13
	v_mul_f32_e32 v11, v11, v14
	v_fma_f32 v16, v12, v13, -v11
	global_load_dwordx2 v[11:12], v[4:5], off
	global_load_dwordx2 v[13:14], v[120:121], off offset:1568
	v_add_co_u32_e64 v4, s[2:3], s16, v4
	v_addc_co_u32_e64 v5, s[2:3], v5, v19, s[2:3]
	s_waitcnt vmcnt(0)
	v_mul_f32_e32 v17, v12, v14
	v_fmac_f32_e32 v17, v11, v13
	v_mul_f32_e32 v11, v11, v14
	v_fma_f32 v18, v12, v13, -v11
	ds_write2_b64 v155, v[15:16], v[17:18] offset0:91 offset1:196
	global_load_dwordx2 v[11:12], v[4:5], off
	global_load_dwordx2 v[13:14], v[120:121], off offset:2408
	v_add_co_u32_e64 v4, s[2:3], s16, v4
	v_addc_co_u32_e64 v5, s[2:3], v5, v19, s[2:3]
	s_waitcnt vmcnt(0)
	v_mul_f32_e32 v15, v12, v14
	v_fmac_f32_e32 v15, v11, v13
	v_mul_f32_e32 v11, v11, v14
	v_fma_f32 v16, v12, v13, -v11
	global_load_dwordx2 v[11:12], v[4:5], off
	global_load_dwordx2 v[13:14], v[120:121], off offset:3248
	v_add_co_u32_e64 v4, s[2:3], s16, v4
	v_addc_co_u32_e64 v5, s[2:3], v5, v19, s[2:3]
	s_waitcnt vmcnt(0)
	v_mul_f32_e32 v17, v12, v14
	v_fmac_f32_e32 v17, v11, v13
	v_mul_f32_e32 v11, v11, v14
	v_fma_f32 v18, v12, v13, -v11
	v_add_u32_e32 v11, 0x800, v155
	ds_write2_b64 v11, v[15:16], v[17:18] offset0:45 offset1:150
	global_load_dwordx2 v[11:12], v[4:5], off
	global_load_dwordx2 v[13:14], v[120:121], off offset:4088
	v_add_co_u32_e64 v4, s[2:3], s16, v4
	v_addc_co_u32_e64 v5, s[2:3], v5, v19, s[2:3]
	s_waitcnt vmcnt(0)
	v_mul_f32_e32 v15, v12, v14
	v_fmac_f32_e32 v15, v11, v13
	v_mul_f32_e32 v11, v11, v14
	v_fma_f32 v16, v12, v13, -v11
	global_load_dwordx2 v[11:12], v[4:5], off
	global_load_dwordx2 v[13:14], v[0:1], off offset:832
	v_add_co_u32_e64 v4, s[2:3], s16, v4
	v_addc_co_u32_e64 v5, s[2:3], v5, v19, s[2:3]
	s_waitcnt vmcnt(0)
	v_mul_f32_e32 v17, v12, v14
	v_fmac_f32_e32 v17, v11, v13
	v_mul_f32_e32 v11, v11, v14
	v_fma_f32 v18, v12, v13, -v11
	ds_write2_b64 v7, v[15:16], v[17:18] offset0:127 offset1:232
	global_load_dwordx2 v[11:12], v[4:5], off
	global_load_dwordx2 v[13:14], v[0:1], off offset:1672
	v_add_co_u32_e64 v4, s[2:3], s16, v4
	v_addc_co_u32_e64 v5, s[2:3], v5, v19, s[2:3]
	s_waitcnt vmcnt(0)
	v_mul_f32_e32 v15, v12, v14
	v_fmac_f32_e32 v15, v11, v13
	v_mul_f32_e32 v11, v11, v14
	v_fma_f32 v16, v12, v13, -v11
	global_load_dwordx2 v[11:12], v[4:5], off
	global_load_dwordx2 v[13:14], v[0:1], off offset:2512
	v_add_co_u32_e64 v4, s[2:3], s16, v4
	v_addc_co_u32_e64 v5, s[2:3], v5, v19, s[2:3]
	s_waitcnt vmcnt(0)
	v_mul_f32_e32 v17, v12, v14
	v_fmac_f32_e32 v17, v11, v13
	v_mul_f32_e32 v11, v11, v14
	v_fma_f32 v18, v12, v13, -v11
	v_add_u32_e32 v11, 0x1400, v155
	ds_write2_b64 v11, v[15:16], v[17:18] offset0:81 offset1:186
	global_load_dwordx2 v[11:12], v[4:5], off
	global_load_dwordx2 v[13:14], v[0:1], off offset:3352
	v_add_co_u32_e64 v4, s[2:3], s16, v4
	v_addc_co_u32_e64 v5, s[2:3], v5, v19, s[2:3]
	s_waitcnt vmcnt(0)
	v_mul_f32_e32 v0, v12, v14
	v_mul_f32_e32 v1, v11, v14
	v_fmac_f32_e32 v0, v11, v13
	v_fma_f32 v1, v12, v13, -v1
	global_load_dwordx2 v[11:12], v[4:5], off
	global_load_dwordx2 v[13:14], v[2:3], off offset:96
	s_waitcnt vmcnt(0)
	v_mul_f32_e32 v15, v12, v14
	v_fmac_f32_e32 v15, v11, v13
	v_mul_f32_e32 v11, v11, v14
	v_fma_f32 v16, v12, v13, -v11
	v_add_u32_e32 v11, 0x1c00, v155
	ds_write2_b64 v11, v[0:1], v[15:16] offset0:35 offset1:140
	v_add_co_u32_e64 v0, s[2:3], s16, v4
	v_addc_co_u32_e64 v1, s[2:3], v5, v19, s[2:3]
	global_load_dwordx2 v[4:5], v[0:1], off
	global_load_dwordx2 v[11:12], v[2:3], off offset:936
	v_add_co_u32_e64 v0, s[2:3], s16, v0
	v_addc_co_u32_e64 v1, s[2:3], v1, v19, s[2:3]
	s_waitcnt vmcnt(0)
	v_mul_f32_e32 v13, v5, v12
	v_fmac_f32_e32 v13, v4, v11
	v_mul_f32_e32 v4, v4, v12
	v_fma_f32 v14, v5, v11, -v4
	global_load_dwordx2 v[4:5], v[0:1], off
	global_load_dwordx2 v[11:12], v[2:3], off offset:1776
	v_add_co_u32_e64 v0, s[2:3], s16, v0
	v_addc_co_u32_e64 v1, s[2:3], v1, v19, s[2:3]
	s_waitcnt vmcnt(0)
	v_mul_f32_e32 v15, v5, v12
	v_fmac_f32_e32 v15, v4, v11
	v_mul_f32_e32 v4, v4, v12
	v_fma_f32 v16, v5, v11, -v4
	ds_write2_b64 v10, v[13:14], v[15:16] offset0:117 offset1:222
	global_load_dwordx2 v[4:5], v[0:1], off
	global_load_dwordx2 v[11:12], v[2:3], off offset:2616
	s_waitcnt vmcnt(0)
	v_mul_f32_e32 v0, v5, v12
	v_mul_f32_e32 v1, v4, v12
	v_fmac_f32_e32 v0, v4, v11
	v_fma_f32 v1, v5, v11, -v1
	ds_write_b64 v155, v[0:1] offset:10808
.LBB0_3:
	s_or_b64 exec, exec, s[18:19]
	s_waitcnt vmcnt(0) lgkmcnt(0)
	s_barrier
	ds_read2_b64 v[44:47], v155 offset1:105
	ds_read2_b64 v[36:39], v6 offset0:82 offset1:187
	ds_read2_b64 v[16:19], v7 offset0:36 offset1:141
	;; [unrolled: 1-line block ×5, first 2 shown]
	ds_read_b64 v[52:53], v155 offset:10080
	v_mov_b32_e32 v0, 0
	v_mov_b32_e32 v1, 0
                                        ; implicit-def: $vgpr6
                                        ; implicit-def: $vgpr24
                                        ; implicit-def: $vgpr28
                                        ; implicit-def: $vgpr48
                                        ; implicit-def: $vgpr22
                                        ; implicit-def: $vgpr10
	s_and_saveexec_b64 s[2:3], s[0:1]
	s_cbranch_execz .LBB0_5
; %bb.4:
	v_add_u32_e32 v4, 0x800, v155
	ds_read2_b64 v[8:11], v4 offset0:45 offset1:150
	v_add_u32_e32 v4, 0xc00, v155
	ds_read2_b64 v[20:23], v4 offset0:127 offset1:232
	v_add_u32_e32 v4, 0x1400, v155
	v_add_u32_e32 v24, 0x1c00, v155
	;; [unrolled: 1-line block ×3, first 2 shown]
	ds_read2_b64 v[0:3], v155 offset0:91 offset1:196
	ds_read2_b64 v[4:7], v4 offset0:81 offset1:186
	ds_read2_b64 v[24:27], v24 offset0:35 offset1:140
	ds_read2_b64 v[28:31], v28 offset0:117 offset1:222
	ds_read_b64 v[48:49], v155 offset:10808
.LBB0_5:
	s_or_b64 exec, exec, s[2:3]
	s_waitcnt lgkmcnt(6)
	v_add_f32_e32 v50, v44, v46
	v_add_f32_e32 v51, v45, v47
	s_waitcnt lgkmcnt(5)
	v_add_f32_e32 v50, v50, v36
	v_add_f32_e32 v51, v51, v37
	v_add_f32_e32 v50, v50, v38
	v_add_f32_e32 v51, v51, v39
	s_waitcnt lgkmcnt(4)
	v_add_f32_e32 v50, v50, v16
	v_add_f32_e32 v51, v51, v17
	;; [unrolled: 5-line block ×4, first 2 shown]
	v_add_f32_e32 v50, v50, v34
	s_movk_i32 s2, 0x5b
	v_add_f32_e32 v51, v51, v35
	s_waitcnt lgkmcnt(1)
	v_add_f32_e32 v50, v50, v40
	v_add_co_u32_e64 v92, s[2:3], s2, v138
	v_add_f32_e32 v51, v51, v41
	v_add_f32_e32 v50, v50, v42
	s_waitcnt lgkmcnt(0)
	v_add_f32_e32 v54, v52, v46
	v_add_f32_e32 v55, v53, v47
	v_sub_f32_e32 v46, v46, v52
	v_sub_f32_e32 v47, v47, v53
	s_load_dwordx2 s[12:13], s[4:5], 0x8
	v_add_f32_e32 v51, v51, v43
	v_add_f32_e32 v50, v50, v52
	v_mul_f32_e32 v52, 0xbeedf032, v47
	s_mov_b32 s14, 0x3f62ad3f
	v_mul_f32_e32 v56, 0xbeedf032, v46
	v_mul_f32_e32 v58, 0xbf52af12, v47
	s_mov_b32 s4, 0x3f116cb1
	v_mul_f32_e32 v60, 0xbf52af12, v46
	;; [unrolled: 3-line block ×6, first 2 shown]
	v_add_f32_e32 v51, v51, v53
	v_fma_f32 v53, v54, s14, -v52
	v_mov_b32_e32 v57, v56
	v_fmac_f32_e32 v52, 0x3f62ad3f, v54
	v_fma_f32 v59, v54, s4, -v58
	v_mov_b32_e32 v61, v60
	v_fmac_f32_e32 v58, 0x3f116cb1, v54
	;; [unrolled: 3-line block ×6, first 2 shown]
	v_add_f32_e32 v53, v44, v53
	v_fmac_f32_e32 v57, 0x3f62ad3f, v55
	v_add_f32_e32 v52, v44, v52
	v_fma_f32 v56, v55, s14, -v56
	v_add_f32_e32 v59, v44, v59
	v_fmac_f32_e32 v61, 0x3f116cb1, v55
	v_add_f32_e32 v58, v44, v58
	v_fma_f32 v60, v55, s4, -v60
	;; [unrolled: 4-line block ×6, first 2 shown]
	v_add_f32_e32 v47, v43, v37
	v_sub_f32_e32 v37, v37, v43
	v_add_f32_e32 v57, v45, v57
	v_add_f32_e32 v56, v45, v56
	;; [unrolled: 1-line block ×13, first 2 shown]
	v_sub_f32_e32 v36, v36, v42
	v_mul_f32_e32 v42, 0xbf52af12, v37
	v_fma_f32 v43, v46, s4, -v42
	v_add_f32_e32 v43, v43, v53
	v_mul_f32_e32 v53, 0xbf52af12, v36
	v_fmac_f32_e32 v42, 0x3f116cb1, v46
	v_mov_b32_e32 v54, v53
	v_add_f32_e32 v42, v42, v52
	v_fma_f32 v52, v47, s4, -v53
	v_mul_f32_e32 v53, 0xbf6f5d39, v37
	v_fmac_f32_e32 v54, 0x3f116cb1, v47
	v_add_f32_e32 v52, v52, v56
	v_fma_f32 v55, v46, s3, -v53
	v_mul_f32_e32 v56, 0xbf6f5d39, v36
	v_fmac_f32_e32 v53, 0xbeb58ec6, v46
	v_add_f32_e32 v54, v54, v57
	v_mov_b32_e32 v57, v56
	v_add_f32_e32 v53, v53, v58
	v_fma_f32 v56, v47, s3, -v56
	v_mul_f32_e32 v58, 0xbe750f2a, v37
	v_add_f32_e32 v55, v55, v59
	v_fmac_f32_e32 v57, 0xbeb58ec6, v47
	v_add_f32_e32 v56, v56, v60
	v_fma_f32 v59, v46, s16, -v58
	v_mul_f32_e32 v60, 0xbe750f2a, v36
	v_fmac_f32_e32 v58, 0xbf788fa5, v46
	v_add_f32_e32 v57, v57, v61
	v_mov_b32_e32 v61, v60
	v_add_f32_e32 v58, v58, v62
	v_fma_f32 v60, v47, s16, -v60
	v_mul_f32_e32 v62, 0x3f29c268, v37
	v_add_f32_e32 v59, v59, v63
	v_fmac_f32_e32 v61, 0xbf788fa5, v47
	v_add_f32_e32 v60, v60, v64
	v_fma_f32 v63, v46, s5, -v62
	v_mul_f32_e32 v64, 0x3f29c268, v36
	v_fmac_f32_e32 v62, 0xbf3f9e67, v46
	v_add_f32_e32 v61, v61, v65
	v_mov_b32_e32 v65, v64
	v_add_f32_e32 v62, v62, v66
	v_fma_f32 v64, v47, s5, -v64
	v_mul_f32_e32 v66, 0x3f7e222b, v37
	v_add_f32_e32 v63, v63, v67
	v_add_f32_e32 v64, v64, v68
	v_fma_f32 v67, v46, s2, -v66
	v_mul_f32_e32 v68, 0x3f7e222b, v36
	v_mul_f32_e32 v36, 0x3eedf032, v36
	v_add_f32_e32 v67, v67, v71
	v_fmac_f32_e32 v66, 0x3df6dbef, v46
	v_mul_f32_e32 v37, 0x3eedf032, v37
	v_mov_b32_e32 v71, v36
	v_fma_f32 v36, v47, s14, -v36
	v_add_f32_e32 v66, v66, v70
	v_fma_f32 v70, v46, s14, -v37
	v_fmac_f32_e32 v37, 0x3f62ad3f, v46
	v_add_f32_e32 v36, v36, v45
	v_add_f32_e32 v45, v41, v39
	v_sub_f32_e32 v39, v39, v41
	v_add_f32_e32 v37, v37, v44
	v_add_f32_e32 v44, v40, v38
	v_sub_f32_e32 v38, v38, v40
	v_mul_f32_e32 v40, 0xbf7e222b, v39
	v_fma_f32 v41, v44, s2, -v40
	v_fmac_f32_e32 v65, 0xbf3f9e67, v47
	v_add_f32_e32 v41, v41, v43
	v_mul_f32_e32 v43, 0xbf7e222b, v38
	v_fmac_f32_e32 v40, 0x3df6dbef, v44
	v_add_f32_e32 v65, v65, v69
	v_mov_b32_e32 v69, v68
	v_mov_b32_e32 v46, v43
	v_add_f32_e32 v40, v40, v42
	v_fma_f32 v42, v45, s2, -v43
	v_mul_f32_e32 v43, 0xbe750f2a, v39
	v_fmac_f32_e32 v69, 0x3df6dbef, v47
	v_fma_f32 v68, v47, s2, -v68
	v_fmac_f32_e32 v71, 0x3f62ad3f, v47
	v_fma_f32 v47, v44, s16, -v43
	v_fmac_f32_e32 v43, 0xbf788fa5, v44
	v_fmac_f32_e32 v46, 0x3df6dbef, v45
	v_add_f32_e32 v42, v42, v52
	v_mul_f32_e32 v52, 0xbe750f2a, v38
	v_add_f32_e32 v43, v43, v53
	v_mul_f32_e32 v53, 0x3f6f5d39, v39
	v_add_f32_e32 v46, v46, v54
	v_add_f32_e32 v47, v47, v55
	v_mov_b32_e32 v54, v52
	v_fma_f32 v52, v45, s16, -v52
	v_fma_f32 v55, v44, s3, -v53
	v_fmac_f32_e32 v53, 0xbeb58ec6, v44
	v_fmac_f32_e32 v54, 0xbf788fa5, v45
	v_add_f32_e32 v52, v52, v56
	v_mul_f32_e32 v56, 0x3f6f5d39, v38
	v_add_f32_e32 v53, v53, v58
	v_mul_f32_e32 v58, 0x3eedf032, v39
	v_add_f32_e32 v54, v54, v57
	v_add_f32_e32 v55, v55, v59
	v_mov_b32_e32 v57, v56
	v_fma_f32 v56, v45, s3, -v56
	;; [unrolled: 11-line block ×3, first 2 shown]
	v_fma_f32 v63, v44, s4, -v62
	v_fmac_f32_e32 v62, 0x3f116cb1, v44
	v_mul_f32_e32 v39, 0xbf29c268, v39
	v_add_f32_e32 v60, v60, v64
	v_mul_f32_e32 v64, 0xbf52af12, v38
	v_add_f32_e32 v62, v62, v66
	v_fma_f32 v66, v44, s5, -v39
	v_mul_f32_e32 v38, 0xbf29c268, v38
	v_fmac_f32_e32 v39, 0xbf3f9e67, v44
	v_add_f32_e32 v63, v63, v67
	v_mov_b32_e32 v67, v38
	v_add_f32_e32 v37, v39, v37
	v_fma_f32 v38, v45, s5, -v38
	v_add_f32_e32 v39, v35, v17
	v_sub_f32_e32 v17, v17, v35
	v_add_f32_e32 v36, v38, v36
	v_add_f32_e32 v38, v34, v16
	v_sub_f32_e32 v16, v16, v34
	v_mul_f32_e32 v34, 0xbf6f5d39, v17
	v_fma_f32 v35, v38, s3, -v34
	v_fmac_f32_e32 v61, 0x3f62ad3f, v45
	v_add_f32_e32 v35, v35, v41
	v_mul_f32_e32 v41, 0xbf6f5d39, v16
	v_fmac_f32_e32 v34, 0xbeb58ec6, v38
	v_add_f32_e32 v61, v61, v65
	v_mov_b32_e32 v65, v64
	v_mov_b32_e32 v44, v41
	v_add_f32_e32 v34, v34, v40
	v_fma_f32 v40, v39, s3, -v41
	v_mul_f32_e32 v41, 0x3f29c268, v17
	v_fmac_f32_e32 v65, 0x3f116cb1, v45
	v_fma_f32 v64, v45, s4, -v64
	v_fmac_f32_e32 v67, 0xbf3f9e67, v45
	v_fmac_f32_e32 v44, 0xbeb58ec6, v39
	v_add_f32_e32 v40, v40, v42
	v_fma_f32 v42, v38, s5, -v41
	v_mul_f32_e32 v45, 0x3f29c268, v16
	v_fmac_f32_e32 v41, 0xbf3f9e67, v38
	v_add_f32_e32 v44, v44, v46
	v_mov_b32_e32 v46, v45
	v_add_f32_e32 v41, v41, v43
	v_fma_f32 v43, v39, s5, -v45
	v_mul_f32_e32 v45, 0x3eedf032, v17
	v_add_f32_e32 v42, v42, v47
	v_fma_f32 v47, v38, s14, -v45
	v_fmac_f32_e32 v45, 0x3f62ad3f, v38
	v_fmac_f32_e32 v46, 0xbf3f9e67, v39
	v_add_f32_e32 v43, v43, v52
	v_mul_f32_e32 v52, 0x3eedf032, v16
	v_add_f32_e32 v45, v45, v53
	v_mul_f32_e32 v53, 0xbf7e222b, v17
	v_add_f32_e32 v46, v46, v54
	v_add_f32_e32 v47, v47, v55
	v_mov_b32_e32 v54, v52
	v_fma_f32 v52, v39, s14, -v52
	v_fma_f32 v55, v38, s2, -v53
	v_fmac_f32_e32 v53, 0x3df6dbef, v38
	v_fmac_f32_e32 v54, 0x3f62ad3f, v39
	v_add_f32_e32 v52, v52, v56
	v_mul_f32_e32 v56, 0xbf7e222b, v16
	v_add_f32_e32 v53, v53, v58
	v_mul_f32_e32 v58, 0x3e750f2a, v17
	v_add_f32_e32 v54, v54, v57
	v_add_f32_e32 v55, v55, v59
	v_mov_b32_e32 v57, v56
	v_fma_f32 v56, v39, s2, -v56
	v_fma_f32 v59, v38, s16, -v58
	v_fmac_f32_e32 v58, 0xbf788fa5, v38
	v_mul_f32_e32 v17, 0x3f52af12, v17
	v_add_f32_e32 v56, v56, v60
	v_mul_f32_e32 v60, 0x3e750f2a, v16
	v_add_f32_e32 v58, v58, v62
	v_fma_f32 v62, v38, s4, -v17
	v_mul_f32_e32 v16, 0x3f52af12, v16
	v_fmac_f32_e32 v17, 0x3f116cb1, v38
	v_add_f32_e32 v59, v59, v63
	v_mov_b32_e32 v63, v16
	v_add_f32_e32 v17, v17, v37
	v_fma_f32 v16, v39, s4, -v16
	v_add_f32_e32 v37, v33, v19
	v_sub_f32_e32 v19, v19, v33
	v_add_f32_e32 v16, v16, v36
	v_add_f32_e32 v36, v32, v18
	v_sub_f32_e32 v18, v18, v32
	v_mul_f32_e32 v32, 0xbf29c268, v19
	v_fma_f32 v33, v36, s5, -v32
	v_fmac_f32_e32 v57, 0x3df6dbef, v39
	v_add_f32_e32 v33, v33, v35
	v_mul_f32_e32 v35, 0xbf29c268, v18
	v_fmac_f32_e32 v32, 0xbf3f9e67, v36
	v_add_f32_e32 v57, v57, v61
	v_mov_b32_e32 v61, v60
	v_mov_b32_e32 v38, v35
	v_add_f32_e32 v32, v32, v34
	v_fma_f32 v34, v37, s5, -v35
	v_mul_f32_e32 v35, 0x3f7e222b, v19
	v_fmac_f32_e32 v61, 0xbf788fa5, v39
	v_fma_f32 v60, v39, s16, -v60
	v_fmac_f32_e32 v63, 0x3f116cb1, v39
	v_add_f32_e32 v34, v34, v40
	v_fma_f32 v39, v36, s2, -v35
	v_mul_f32_e32 v40, 0x3f7e222b, v18
	v_add_f32_e32 v39, v39, v42
	v_mov_b32_e32 v42, v40
	v_fma_f32 v40, v37, s2, -v40
	v_fmac_f32_e32 v35, 0x3df6dbef, v36
	v_add_f32_e32 v43, v40, v43
	v_mul_f32_e32 v40, 0xbf52af12, v19
	v_fmac_f32_e32 v38, 0xbf3f9e67, v37
	v_add_f32_e32 v35, v35, v41
	v_fma_f32 v41, v36, s4, -v40
	v_add_f32_e32 v38, v38, v44
	v_add_f32_e32 v44, v41, v47
	v_mul_f32_e32 v41, 0xbf52af12, v18
	v_fmac_f32_e32 v40, 0x3f116cb1, v36
	v_add_f32_e32 v45, v40, v45
	v_fma_f32 v40, v37, s4, -v41
	v_fmac_f32_e32 v42, 0x3df6dbef, v37
	v_add_f32_e32 v47, v40, v52
	v_mul_f32_e32 v40, 0x3e750f2a, v19
	v_add_f32_e32 v42, v42, v46
	v_mov_b32_e32 v46, v41
	v_fma_f32 v41, v36, s16, -v40
	v_add_f32_e32 v52, v41, v55
	v_mul_f32_e32 v41, 0x3e750f2a, v18
	v_fmac_f32_e32 v40, 0xbf788fa5, v36
	v_add_f32_e32 v53, v40, v53
	v_fma_f32 v40, v37, s16, -v41
	v_fmac_f32_e32 v46, 0x3f116cb1, v37
	v_add_f32_e32 v55, v40, v56
	v_mul_f32_e32 v40, 0x3eedf032, v19
	v_add_f32_e32 v68, v68, v72
	v_add_f32_e32 v46, v46, v54
	v_mov_b32_e32 v54, v41
	v_fma_f32 v41, v36, s14, -v40
	v_add_f32_e32 v70, v70, v74
	v_add_f32_e32 v64, v64, v68
	;; [unrolled: 1-line block ×3, first 2 shown]
	v_mul_f32_e32 v41, 0x3eedf032, v18
	v_fmac_f32_e32 v40, 0x3f62ad3f, v36
	v_add_f32_e32 v66, v66, v70
	v_add_f32_e32 v60, v60, v64
	;; [unrolled: 1-line block ×3, first 2 shown]
	v_fma_f32 v40, v37, s14, -v41
	v_mul_f32_e32 v19, 0xbf6f5d39, v19
	v_add_f32_e32 v62, v62, v66
	v_add_f32_e32 v59, v40, v60
	v_fma_f32 v40, v36, s3, -v19
	v_mul_f32_e32 v18, 0xbf6f5d39, v18
	v_fmac_f32_e32 v19, 0xbeb58ec6, v36
	v_add_f32_e32 v60, v40, v62
	v_mov_b32_e32 v40, v18
	v_add_f32_e32 v17, v19, v17
	v_fma_f32 v18, v37, s3, -v18
	v_add_f32_e32 v19, v15, v13
	v_sub_f32_e32 v13, v13, v15
	v_add_f32_e32 v16, v18, v16
	v_add_f32_e32 v18, v14, v12
	v_sub_f32_e32 v12, v12, v14
	v_mul_f32_e32 v14, 0xbe750f2a, v13
	v_fma_f32 v15, v18, s16, -v14
	v_add_f32_e32 v36, v15, v33
	v_mul_f32_e32 v15, 0xbe750f2a, v12
	v_fmac_f32_e32 v54, 0xbf788fa5, v37
	v_mov_b32_e32 v33, v15
	v_fmac_f32_e32 v14, 0xbf788fa5, v18
	v_add_f32_e32 v69, v69, v73
	v_add_f32_e32 v71, v71, v75
	v_add_f32_e32 v54, v54, v57
	v_mov_b32_e32 v57, v41
	v_fmac_f32_e32 v33, 0xbf788fa5, v19
	v_add_f32_e32 v32, v14, v32
	v_fma_f32 v14, v19, s16, -v15
	v_add_f32_e32 v65, v65, v69
	v_add_f32_e32 v67, v67, v71
	v_fmac_f32_e32 v57, 0x3f62ad3f, v37
	v_fmac_f32_e32 v40, 0xbeb58ec6, v37
	v_add_f32_e32 v37, v33, v38
	v_add_f32_e32 v33, v14, v34
	v_mul_f32_e32 v14, 0x3eedf032, v13
	v_add_f32_e32 v61, v61, v65
	v_add_f32_e32 v63, v63, v67
	v_fma_f32 v15, v18, s14, -v14
	v_add_f32_e32 v57, v57, v61
	v_add_f32_e32 v61, v40, v63
	;; [unrolled: 1-line block ×3, first 2 shown]
	v_mul_f32_e32 v15, 0x3eedf032, v12
	v_mov_b32_e32 v34, v15
	v_fmac_f32_e32 v34, 0x3f62ad3f, v19
	v_fmac_f32_e32 v14, 0x3f62ad3f, v18
	v_add_f32_e32 v41, v34, v42
	v_add_f32_e32 v34, v14, v35
	v_fma_f32 v14, v19, s14, -v15
	v_add_f32_e32 v35, v14, v43
	v_mul_f32_e32 v14, 0xbf29c268, v13
	v_fma_f32 v15, v18, s5, -v14
	v_add_f32_e32 v42, v15, v44
	v_mul_f32_e32 v15, 0xbf29c268, v12
	v_mov_b32_e32 v38, v15
	v_fmac_f32_e32 v38, 0xbf3f9e67, v19
	v_fmac_f32_e32 v14, 0xbf3f9e67, v18
	v_add_f32_e32 v43, v38, v46
	v_add_f32_e32 v38, v14, v45
	v_fma_f32 v14, v19, s5, -v15
	v_add_f32_e32 v39, v14, v47
	v_mul_f32_e32 v14, 0x3f52af12, v13
	v_fma_f32 v15, v18, s4, -v14
	v_add_f32_e32 v46, v15, v52
	;; [unrolled: 11-line block ×3, first 2 shown]
	v_mul_f32_e32 v15, 0xbf6f5d39, v12
	v_mov_b32_e32 v52, v15
	v_fmac_f32_e32 v52, 0xbeb58ec6, v19
	v_fmac_f32_e32 v14, 0xbeb58ec6, v18
	v_add_f32_e32 v55, v52, v57
	v_add_f32_e32 v52, v14, v58
	v_fma_f32 v14, v19, s3, -v15
	v_mul_f32_e32 v13, 0x3f7e222b, v13
	v_add_f32_e32 v53, v14, v59
	v_fma_f32 v14, v18, s2, -v13
	v_mul_f32_e32 v12, 0x3f7e222b, v12
	v_add_f32_e32 v56, v14, v60
	v_mov_b32_e32 v14, v12
	v_fmac_f32_e32 v14, 0x3df6dbef, v19
	v_add_f32_e32 v57, v14, v61
	v_sub_f32_e32 v14, v2, v48
	v_fmac_f32_e32 v13, 0x3df6dbef, v18
	v_fma_f32 v12, v19, s2, -v12
	v_sub_f32_e32 v15, v3, v49
	v_mul_f32_e32 v18, 0xbeedf032, v14
	v_mul_f32_e32 v62, 0xbf52af12, v14
	;; [unrolled: 1-line block ×6, first 2 shown]
	v_add_f32_e32 v58, v13, v17
	v_add_f32_e32 v59, v12, v16
	;; [unrolled: 1-line block ×4, first 2 shown]
	v_mul_f32_e32 v16, 0xbeedf032, v15
	v_mov_b32_e32 v19, v18
	v_mov_b32_e32 v63, v62
	;; [unrolled: 1-line block ×6, first 2 shown]
	v_sub_f32_e32 v79, v9, v31
	v_fma_f32 v17, v12, s14, -v16
	v_fmac_f32_e32 v19, 0x3f62ad3f, v13
	v_fma_f32 v18, v13, s14, -v18
	v_mul_f32_e32 v60, 0xbf52af12, v15
	v_fmac_f32_e32 v63, 0x3f116cb1, v13
	v_fma_f32 v62, v13, s4, -v62
	v_mul_f32_e32 v64, 0xbf7e222b, v15
	;; [unrolled: 3-line block ×5, first 2 shown]
	v_fmac_f32_e32 v77, 0xbf788fa5, v13
	v_fma_f32 v13, v13, s16, -v14
	v_add_f32_e32 v14, v30, v8
	v_mul_f32_e32 v80, 0xbf52af12, v79
	v_add_f32_e32 v17, v17, v0
	v_fmac_f32_e32 v16, 0x3f62ad3f, v12
	v_fma_f32 v76, v12, s16, -v15
	v_fmac_f32_e32 v15, 0xbf788fa5, v12
	v_sub_f32_e32 v78, v8, v30
	v_fma_f32 v81, v14, s4, -v80
	v_add_f32_e32 v16, v16, v0
	v_fma_f32 v61, v12, s4, -v60
	v_fmac_f32_e32 v60, 0x3f116cb1, v12
	v_fma_f32 v65, v12, s2, -v64
	v_fmac_f32_e32 v64, 0x3df6dbef, v12
	;; [unrolled: 2-line block ×4, first 2 shown]
	v_add_f32_e32 v12, v15, v0
	v_add_f32_e32 v15, v31, v9
	;; [unrolled: 1-line block ×3, first 2 shown]
	v_mul_f32_e32 v81, 0xbf52af12, v78
	v_fmac_f32_e32 v80, 0x3f116cb1, v14
	v_add_f32_e32 v18, v18, v1
	v_add_f32_e32 v16, v80, v16
	v_fma_f32 v80, v15, s4, -v81
	v_add_f32_e32 v18, v80, v18
	v_mul_f32_e32 v80, 0xbf6f5d39, v79
	v_add_f32_e32 v61, v61, v0
	v_mov_b32_e32 v82, v81
	v_fma_f32 v81, v14, s3, -v80
	v_add_f32_e32 v60, v60, v0
	v_add_f32_e32 v61, v81, v61
	v_mul_f32_e32 v81, 0xbf6f5d39, v78
	v_fmac_f32_e32 v80, 0xbeb58ec6, v14
	v_add_f32_e32 v62, v62, v1
	v_add_f32_e32 v60, v80, v60
	v_fma_f32 v80, v15, s3, -v81
	v_add_f32_e32 v19, v19, v1
	v_fmac_f32_e32 v82, 0x3f116cb1, v15
	v_add_f32_e32 v62, v80, v62
	v_mul_f32_e32 v80, 0xbe750f2a, v79
	v_add_f32_e32 v65, v65, v0
	v_add_f32_e32 v19, v82, v19
	v_mov_b32_e32 v82, v81
	v_fma_f32 v81, v14, s16, -v80
	v_add_f32_e32 v64, v64, v0
	v_add_f32_e32 v65, v81, v65
	v_mul_f32_e32 v81, 0xbe750f2a, v78
	v_fmac_f32_e32 v80, 0xbf788fa5, v14
	v_add_f32_e32 v66, v66, v1
	v_add_f32_e32 v64, v80, v64
	v_fma_f32 v80, v15, s16, -v81
	v_add_f32_e32 v63, v63, v1
	v_fmac_f32_e32 v82, 0xbeb58ec6, v15
	v_add_f32_e32 v66, v80, v66
	v_mul_f32_e32 v80, 0x3f29c268, v79
	v_add_f32_e32 v69, v69, v0
	;; [unrolled: 15-line block ×3, first 2 shown]
	v_add_f32_e32 v67, v82, v67
	v_mov_b32_e32 v82, v81
	v_fma_f32 v81, v14, s2, -v80
	v_add_f32_e32 v72, v72, v0
	v_add_f32_e32 v73, v81, v73
	v_mul_f32_e32 v81, 0x3f7e222b, v78
	v_fmac_f32_e32 v80, 0x3df6dbef, v14
	v_add_f32_e32 v74, v74, v1
	v_add_f32_e32 v72, v80, v72
	v_fma_f32 v80, v15, s2, -v81
	v_mul_f32_e32 v79, 0x3eedf032, v79
	v_add_f32_e32 v76, v76, v0
	v_add_f32_e32 v74, v80, v74
	v_fma_f32 v80, v14, s14, -v79
	v_mul_f32_e32 v78, 0x3eedf032, v78
	v_add_f32_e32 v76, v80, v76
	v_mov_b32_e32 v80, v78
	v_fmac_f32_e32 v79, 0x3f62ad3f, v14
	v_add_f32_e32 v77, v77, v1
	v_add_f32_e32 v13, v13, v1
	v_fmac_f32_e32 v80, 0x3f62ad3f, v15
	v_add_f32_e32 v12, v79, v12
	v_fma_f32 v14, v15, s14, -v78
	v_sub_f32_e32 v79, v11, v29
	v_add_f32_e32 v71, v71, v1
	v_fmac_f32_e32 v82, 0xbf3f9e67, v15
	v_add_f32_e32 v77, v80, v77
	v_add_f32_e32 v13, v14, v13
	;; [unrolled: 1-line block ×3, first 2 shown]
	v_mul_f32_e32 v80, 0xbf7e222b, v79
	v_add_f32_e32 v71, v82, v71
	v_mov_b32_e32 v82, v81
	v_sub_f32_e32 v78, v10, v28
	v_fma_f32 v81, v14, s2, -v80
	v_fmac_f32_e32 v82, 0x3df6dbef, v15
	v_add_f32_e32 v15, v29, v11
	v_add_f32_e32 v17, v81, v17
	v_mul_f32_e32 v81, 0xbf7e222b, v78
	v_fmac_f32_e32 v80, 0x3df6dbef, v14
	v_add_f32_e32 v16, v80, v16
	v_fma_f32 v80, v15, s2, -v81
	v_add_f32_e32 v75, v75, v1
	v_add_f32_e32 v18, v80, v18
	v_mul_f32_e32 v80, 0xbe750f2a, v79
	v_add_f32_e32 v75, v82, v75
	v_mov_b32_e32 v82, v81
	v_fma_f32 v81, v14, s16, -v80
	v_add_f32_e32 v61, v81, v61
	v_mul_f32_e32 v81, 0xbe750f2a, v78
	v_fmac_f32_e32 v80, 0xbf788fa5, v14
	v_add_f32_e32 v60, v80, v60
	v_fma_f32 v80, v15, s16, -v81
	v_fmac_f32_e32 v82, 0x3df6dbef, v15
	v_add_f32_e32 v62, v80, v62
	v_mul_f32_e32 v80, 0x3f6f5d39, v79
	v_add_f32_e32 v19, v82, v19
	v_mov_b32_e32 v82, v81
	v_fma_f32 v81, v14, s3, -v80
	v_add_f32_e32 v65, v81, v65
	v_mul_f32_e32 v81, 0x3f6f5d39, v78
	v_fmac_f32_e32 v80, 0xbeb58ec6, v14
	v_add_f32_e32 v64, v80, v64
	v_fma_f32 v80, v15, s3, -v81
	v_fmac_f32_e32 v82, 0xbf788fa5, v15
	;; [unrolled: 11-line block ×3, first 2 shown]
	v_add_f32_e32 v70, v80, v70
	v_mul_f32_e32 v80, 0xbf52af12, v79
	v_add_f32_e32 v67, v82, v67
	v_mov_b32_e32 v82, v81
	v_fma_f32 v81, v14, s4, -v80
	v_add_f32_e32 v73, v81, v73
	v_mul_f32_e32 v81, 0xbf52af12, v78
	v_fmac_f32_e32 v80, 0x3f116cb1, v14
	v_add_f32_e32 v72, v80, v72
	v_fma_f32 v80, v15, s4, -v81
	v_mul_f32_e32 v79, 0xbf29c268, v79
	v_add_f32_e32 v74, v80, v74
	v_fma_f32 v80, v14, s5, -v79
	v_mul_f32_e32 v78, 0xbf29c268, v78
	v_add_f32_e32 v76, v80, v76
	v_mov_b32_e32 v80, v78
	v_fmac_f32_e32 v79, 0xbf3f9e67, v14
	v_fmac_f32_e32 v80, 0xbf3f9e67, v15
	v_add_f32_e32 v12, v79, v12
	v_fma_f32 v14, v15, s5, -v78
	v_sub_f32_e32 v79, v21, v27
	v_fmac_f32_e32 v82, 0x3f62ad3f, v15
	v_add_f32_e32 v77, v80, v77
	v_add_f32_e32 v13, v14, v13
	;; [unrolled: 1-line block ×3, first 2 shown]
	v_mul_f32_e32 v80, 0xbf6f5d39, v79
	v_add_f32_e32 v71, v82, v71
	v_mov_b32_e32 v82, v81
	v_sub_f32_e32 v78, v20, v26
	v_fma_f32 v81, v14, s3, -v80
	v_fmac_f32_e32 v82, 0x3f116cb1, v15
	v_add_f32_e32 v15, v27, v21
	v_add_f32_e32 v17, v81, v17
	v_mul_f32_e32 v81, 0xbf6f5d39, v78
	v_fmac_f32_e32 v80, 0xbeb58ec6, v14
	v_add_f32_e32 v16, v80, v16
	v_fma_f32 v80, v15, s3, -v81
	v_add_f32_e32 v18, v80, v18
	v_mul_f32_e32 v80, 0x3f29c268, v79
	v_add_f32_e32 v75, v82, v75
	v_mov_b32_e32 v82, v81
	v_fma_f32 v81, v14, s5, -v80
	v_add_f32_e32 v61, v81, v61
	v_mul_f32_e32 v81, 0x3f29c268, v78
	v_fmac_f32_e32 v80, 0xbf3f9e67, v14
	v_add_f32_e32 v60, v80, v60
	v_fma_f32 v80, v15, s5, -v81
	v_fmac_f32_e32 v82, 0xbeb58ec6, v15
	v_add_f32_e32 v62, v80, v62
	v_mul_f32_e32 v80, 0x3eedf032, v79
	v_add_f32_e32 v19, v82, v19
	v_mov_b32_e32 v82, v81
	v_fma_f32 v81, v14, s14, -v80
	v_add_f32_e32 v65, v81, v65
	v_mul_f32_e32 v81, 0x3eedf032, v78
	v_fmac_f32_e32 v80, 0x3f62ad3f, v14
	v_add_f32_e32 v64, v80, v64
	v_fma_f32 v80, v15, s14, -v81
	v_fmac_f32_e32 v82, 0xbf3f9e67, v15
	v_add_f32_e32 v66, v80, v66
	v_mul_f32_e32 v80, 0xbf7e222b, v79
	v_add_f32_e32 v63, v82, v63
	v_mov_b32_e32 v82, v81
	v_fma_f32 v81, v14, s2, -v80
	v_add_f32_e32 v69, v81, v69
	v_mul_f32_e32 v81, 0xbf7e222b, v78
	v_fmac_f32_e32 v80, 0x3df6dbef, v14
	v_add_f32_e32 v68, v80, v68
	v_fma_f32 v80, v15, s2, -v81
	v_fmac_f32_e32 v82, 0x3f62ad3f, v15
	v_add_f32_e32 v70, v80, v70
	v_mul_f32_e32 v80, 0x3e750f2a, v79
	v_add_f32_e32 v67, v82, v67
	v_mov_b32_e32 v82, v81
	v_fma_f32 v81, v14, s16, -v80
	v_add_f32_e32 v73, v81, v73
	v_mul_f32_e32 v81, 0x3e750f2a, v78
	v_fmac_f32_e32 v80, 0xbf788fa5, v14
	v_add_f32_e32 v72, v80, v72
	v_fma_f32 v80, v15, s16, -v81
	v_mul_f32_e32 v79, 0x3f52af12, v79
	v_add_f32_e32 v74, v80, v74
	v_fma_f32 v80, v14, s4, -v79
	v_mul_f32_e32 v78, 0x3f52af12, v78
	v_add_f32_e32 v76, v80, v76
	v_mov_b32_e32 v80, v78
	v_fmac_f32_e32 v79, 0x3f116cb1, v14
	v_fmac_f32_e32 v80, 0x3f116cb1, v15
	v_add_f32_e32 v12, v79, v12
	v_fma_f32 v14, v15, s4, -v78
	v_sub_f32_e32 v79, v23, v25
	v_fmac_f32_e32 v82, 0x3df6dbef, v15
	v_add_f32_e32 v77, v80, v77
	v_add_f32_e32 v13, v14, v13
	;; [unrolled: 1-line block ×3, first 2 shown]
	v_mul_f32_e32 v80, 0xbf29c268, v79
	v_add_f32_e32 v71, v82, v71
	v_mov_b32_e32 v82, v81
	v_sub_f32_e32 v78, v22, v24
	v_fma_f32 v81, v14, s5, -v80
	v_fmac_f32_e32 v82, 0xbf788fa5, v15
	v_add_f32_e32 v15, v25, v23
	v_add_f32_e32 v17, v81, v17
	v_mul_f32_e32 v81, 0xbf29c268, v78
	v_fmac_f32_e32 v80, 0xbf3f9e67, v14
	v_add_f32_e32 v16, v80, v16
	v_fma_f32 v80, v15, s5, -v81
	v_add_f32_e32 v18, v80, v18
	v_mul_f32_e32 v80, 0x3f7e222b, v79
	v_add_f32_e32 v75, v82, v75
	v_mov_b32_e32 v82, v81
	v_fma_f32 v81, v14, s2, -v80
	v_add_f32_e32 v61, v81, v61
	v_mul_f32_e32 v81, 0x3f7e222b, v78
	v_fmac_f32_e32 v80, 0x3df6dbef, v14
	v_add_f32_e32 v60, v80, v60
	v_fma_f32 v80, v15, s2, -v81
	v_fmac_f32_e32 v82, 0xbf3f9e67, v15
	v_add_f32_e32 v62, v80, v62
	v_mul_f32_e32 v80, 0xbf52af12, v79
	v_add_f32_e32 v19, v82, v19
	v_mov_b32_e32 v82, v81
	v_fma_f32 v81, v14, s4, -v80
	v_add_f32_e32 v65, v81, v65
	v_mul_f32_e32 v81, 0xbf52af12, v78
	v_fmac_f32_e32 v80, 0x3f116cb1, v14
	v_add_f32_e32 v64, v80, v64
	v_fma_f32 v80, v15, s4, -v81
	v_fmac_f32_e32 v82, 0x3df6dbef, v15
	;; [unrolled: 11-line block ×4, first 2 shown]
	v_add_f32_e32 v84, v72, v74
	v_mul_f32_e32 v72, 0xbf6f5d39, v79
	v_add_f32_e32 v71, v82, v71
	v_mov_b32_e32 v82, v73
	v_fma_f32 v73, v14, s3, -v72
	v_add_f32_e32 v85, v73, v76
	v_mul_f32_e32 v73, 0xbf6f5d39, v78
	v_fmac_f32_e32 v72, 0xbeb58ec6, v14
	v_add_f32_e32 v87, v72, v12
	v_fma_f32 v12, v15, s3, -v73
	v_sub_f32_e32 v93, v5, v7
	v_add_f32_e32 v88, v12, v13
	v_add_f32_e32 v89, v6, v4
	v_mul_f32_e32 v12, 0xbe750f2a, v93
	v_sub_f32_e32 v91, v4, v6
	v_fma_f32 v13, v89, s16, -v12
	v_add_f32_e32 v90, v7, v5
	v_add_f32_e32 v72, v13, v17
	v_mul_f32_e32 v13, 0xbe750f2a, v91
	v_fmac_f32_e32 v12, 0xbf788fa5, v89
	v_add_f32_e32 v149, v12, v16
	v_fma_f32 v12, v90, s16, -v13
	v_mov_b32_e32 v74, v73
	v_add_f32_e32 v150, v12, v18
	v_mul_f32_e32 v12, 0x3eedf032, v93
	v_fmac_f32_e32 v74, 0xbeb58ec6, v15
	v_mov_b32_e32 v14, v13
	v_fma_f32 v13, v89, s14, -v12
	v_add_f32_e32 v86, v74, v77
	v_fmac_f32_e32 v14, 0xbf788fa5, v90
	v_add_f32_e32 v74, v13, v61
	v_mul_f32_e32 v13, 0x3eedf032, v91
	v_add_f32_e32 v73, v14, v19
	v_mov_b32_e32 v14, v13
	v_fmac_f32_e32 v82, 0x3f62ad3f, v15
	v_fmac_f32_e32 v14, 0x3f62ad3f, v90
	;; [unrolled: 1-line block ×3, first 2 shown]
	v_add_f32_e32 v82, v82, v75
	v_add_f32_e32 v75, v14, v63
	;; [unrolled: 1-line block ×3, first 2 shown]
	v_fma_f32 v12, v90, s14, -v13
	v_add_f32_e32 v15, v12, v62
	v_mul_f32_e32 v12, 0xbf29c268, v93
	v_fma_f32 v13, v89, s5, -v12
	v_add_f32_e32 v76, v13, v65
	v_mul_f32_e32 v13, 0xbf29c268, v91
	v_mov_b32_e32 v16, v13
	v_fmac_f32_e32 v16, 0xbf3f9e67, v90
	v_add_f32_e32 v77, v16, v67
	v_mul_f32_e32 v16, 0x3f52af12, v93
	v_fma_f32 v17, v89, s4, -v16
	v_add_f32_e32 v78, v17, v69
	v_mul_f32_e32 v17, 0x3f52af12, v91
	v_mov_b32_e32 v18, v17
	v_fmac_f32_e32 v18, 0x3f116cb1, v90
	v_fmac_f32_e32 v16, 0x3f116cb1, v89
	v_add_f32_e32 v79, v18, v71
	v_add_f32_e32 v18, v16, v68
	v_fma_f32 v16, v90, s4, -v17
	v_add_f32_e32 v19, v16, v70
	v_mul_f32_e32 v16, 0xbf6f5d39, v93
	v_fma_f32 v17, v89, s3, -v16
	v_add_f32_e32 v80, v17, v81
	v_mul_f32_e32 v17, 0xbf6f5d39, v91
	v_mov_b32_e32 v60, v17
	v_fmac_f32_e32 v60, 0xbeb58ec6, v90
	v_add_f32_e32 v81, v60, v82
	v_mul_f32_e32 v60, 0x3f7e222b, v93
	v_fma_f32 v61, v89, s2, -v60
	v_fma_f32 v17, v90, s3, -v17
	v_add_f32_e32 v82, v61, v85
	v_mul_f32_e32 v61, 0x3f7e222b, v91
	v_fmac_f32_e32 v60, 0x3df6dbef, v89
	v_add_f32_e32 v17, v17, v84
	v_mov_b32_e32 v62, v61
	v_add_f32_e32 v84, v60, v87
	v_fma_f32 v60, v90, s2, -v61
	s_waitcnt lgkmcnt(0)
	s_barrier
	buffer_load_dword v61, off, s[20:23], 0 ; 4-byte Folded Reload
	v_add_f32_e32 v85, v60, v88
	v_mul_lo_u16_e32 v60, 13, v138
	v_fmac_f32_e32 v12, 0xbf3f9e67, v89
	v_fma_f32 v13, v90, s5, -v13
	v_fmac_f32_e32 v16, 0xbeb58ec6, v89
	v_fmac_f32_e32 v62, 0x3df6dbef, v90
	v_add_f32_e32 v12, v12, v64
	v_add_f32_e32 v13, v13, v66
	;; [unrolled: 1-line block ×4, first 2 shown]
	s_waitcnt vmcnt(0)
	v_lshl_add_u32 v254, v60, 3, v61
	ds_write2_b64 v254, v[50:51], v[36:37] offset1:1
	ds_write2_b64 v254, v[40:41], v[42:43] offset0:2 offset1:3
	ds_write2_b64 v254, v[46:47], v[54:55] offset0:4 offset1:5
	;; [unrolled: 1-line block ×5, first 2 shown]
	ds_write_b64 v254, v[32:33] offset:96
	v_mul_u32_u24_e32 v32, 13, v92
	buffer_store_dword v32, off, s[20:23], 0 offset:4 ; 4-byte Folded Spill
	s_and_saveexec_b64 s[2:3], s[0:1]
	s_cbranch_execz .LBB0_7
; %bb.6:
	v_add_f32_e32 v1, v3, v1
	buffer_load_dword v3, off, s[20:23], 0  ; 4-byte Folded Reload
	v_add_f32_e32 v0, v2, v0
	v_add_f32_e32 v1, v9, v1
	;; [unrolled: 1-line block ×21, first 2 shown]
	v_mul_u32_u24_e32 v2, 13, v92
	v_add_f32_e32 v1, v49, v1
	v_add_f32_e32 v0, v48, v0
	s_waitcnt vmcnt(0)
	v_lshl_add_u32 v2, v2, 3, v3
	ds_write2_b64 v2, v[0:1], v[72:73] offset1:1
	ds_write2_b64 v2, v[74:75], v[76:77] offset0:2 offset1:3
	ds_write2_b64 v2, v[78:79], v[80:81] offset0:4 offset1:5
	;; [unrolled: 1-line block ×5, first 2 shown]
	ds_write_b64 v2, v[149:150] offset:96
.LBB0_7:
	s_or_b64 exec, exec, s[2:3]
	v_add_u32_e32 v2, 0x1800, v155
	s_waitcnt vmcnt(0) lgkmcnt(0)
	s_barrier
	v_add_u32_e32 v1, 0x800, v155
	ds_read2_b64 v[60:63], v2 offset0:12 offset1:103
	v_add_u32_e32 v2, 0x1c00, v155
	v_add_u32_e32 v0, 0x400, v155
	ds_read2_b64 v[52:55], v1 offset0:134 offset1:225
	v_add_u32_e32 v1, 0x1000, v155
	ds_read2_b64 v[64:67], v2 offset0:79 offset1:170
	v_add_u32_e32 v2, 0x2000, v155
	ds_read2_b64 v[44:47], v155 offset1:91
	ds_read2_b64 v[48:51], v0 offset0:67 offset1:158
	ds_read2_b64 v[56:59], v1 offset0:73 offset1:164
	;; [unrolled: 1-line block ×3, first 2 shown]
	v_cmp_gt_u16_e64 s[2:3], 13, v138
	s_and_saveexec_b64 s[4:5], s[2:3]
	s_cbranch_execz .LBB0_9
; %bb.8:
	v_add_u32_e32 v2, 0x1e00, v155
	ds_read2_b64 v[2:5], v2 offset0:2 offset1:197
	ds_read2_b64 v[6:9], v0 offset0:54 offset1:249
	;; [unrolled: 1-line block ×3, first 2 shown]
	ds_read_b64 v[84:85], v155 offset:10816
	s_waitcnt lgkmcnt(3)
	v_mov_b32_e32 v82, v4
	v_mov_b32_e32 v83, v5
	;; [unrolled: 1-line block ×4, first 2 shown]
	s_waitcnt lgkmcnt(1)
	v_mov_b32_e32 v78, v22
	v_mov_b32_e32 v79, v23
	;; [unrolled: 1-line block ×8, first 2 shown]
.LBB0_9:
	s_or_b64 exec, exec, s[4:5]
	s_movk_i32 s4, 0x4f
	v_mul_lo_u16_sdwa v0, v138, s4 dst_sel:DWORD dst_unused:UNUSED_PAD src0_sel:BYTE_0 src1_sel:DWORD
	v_mul_lo_u16_sdwa v2, v92, s4 dst_sel:DWORD dst_unused:UNUSED_PAD src0_sel:BYTE_0 src1_sel:DWORD
	v_lshrrev_b16_e32 v94, 10, v0
	v_lshrrev_b16_e32 v96, 10, v2
	v_mul_lo_u16_e32 v0, 13, v94
	v_mul_lo_u16_e32 v2, 13, v96
	v_sub_u16_e32 v95, v138, v0
	v_mov_b32_e32 v0, 6
	v_sub_u16_e32 v97, v92, v2
	v_mul_u32_u24_sdwa v1, v95, v0 dst_sel:DWORD dst_unused:UNUSED_PAD src0_sel:BYTE_0 src1_sel:DWORD
	v_mul_u32_u24_sdwa v0, v97, v0 dst_sel:DWORD dst_unused:UNUSED_PAD src0_sel:BYTE_0 src1_sel:DWORD
	s_movk_i32 s4, 0xb6
	v_lshlrev_b32_e32 v1, 3, v1
	v_lshlrev_b32_e32 v0, 3, v0
	s_movk_i32 s14, 0x4ec5
	v_add_co_u32_e64 v93, s[4:5], s4, v138
	global_load_dwordx4 v[28:31], v1, s[12:13]
	global_load_dwordx4 v[20:23], v1, s[12:13] offset:16
	global_load_dwordx4 v[40:43], v1, s[12:13] offset:32
	global_load_dwordx4 v[36:39], v0, s[12:13]
	global_load_dwordx4 v[32:35], v0, s[12:13] offset:16
	global_load_dwordx4 v[24:27], v0, s[12:13] offset:32
	v_mul_u32_u24_sdwa v0, v93, s14 dst_sel:DWORD dst_unused:UNUSED_PAD src0_sel:WORD_0 src1_sel:DWORD
	v_lshrrev_b32_e32 v0, 18, v0
	v_mul_lo_u16_e32 v0, 13, v0
	v_sub_u16_e32 v98, v93, v0
	v_mul_lo_u16_e32 v0, 6, v98
	v_lshlrev_b32_e32 v4, 3, v0
	global_load_dwordx4 v[0:3], v4, s[12:13]
	global_load_dwordx4 v[8:11], v4, s[12:13] offset:16
	s_nop 0
	global_load_dwordx4 v[4:7], v4, s[12:13] offset:32
	s_mov_b32 s4, 0x3f5ff5aa
	s_mov_b32 s5, 0x3f3bfb3b
	s_mov_b32 s14, 0xbf3bfb3b
	s_mov_b32 s16, 0xbeae86e6
	s_waitcnt vmcnt(0) lgkmcnt(0)
	s_barrier
	v_mul_f32_e32 v87, v48, v29
	v_mul_f32_e32 v88, v53, v31
	;; [unrolled: 1-line block ×12, first 2 shown]
	v_fmac_f32_e32 v87, v49, v28
	v_fma_f32 v49, v52, v30, -v88
	v_fma_f32 v52, v56, v20, -v90
	;; [unrolled: 1-line block ×3, first 2 shown]
	v_fmac_f32_e32 v102, v65, v40
	v_fma_f32 v64, v50, v36, -v105
	v_fma_f32 v65, v54, v38, -v107
	v_mul_f32_e32 v50, v75, v1
	v_mul_f32_e32 v88, v76, v3
	;; [unrolled: 1-line block ×3, first 2 shown]
	v_fmac_f32_e32 v106, v51, v36
	v_mul_f32_e32 v51, v77, v3
	v_fma_f32 v90, v74, v0, -v50
	v_fmac_f32_e32 v88, v77, v2
	v_fma_f32 v77, v78, v8, -v54
	v_mul_f32_e32 v78, v78, v9
	v_mul_f32_e32 v50, v81, v11
	;; [unrolled: 1-line block ×3, first 2 shown]
	v_fmac_f32_e32 v78, v79, v8
	v_fma_f32 v79, v80, v10, -v50
	v_mul_f32_e32 v80, v80, v11
	v_mul_f32_e32 v50, v83, v5
	;; [unrolled: 1-line block ×4, first 2 shown]
	v_fma_f32 v48, v48, v28, -v86
	v_fmac_f32_e32 v91, v57, v20
	v_fma_f32 v57, v68, v42, -v103
	v_fmac_f32_e32 v80, v81, v10
	v_fma_f32 v81, v82, v4, -v50
	v_mul_f32_e32 v82, v82, v5
	v_mul_f32_e32 v50, v85, v7
	v_mul_f32_e32 v100, v60, v23
	v_mul_f32_e32 v109, v59, v33
	v_fmac_f32_e32 v89, v53, v30
	v_fma_f32 v53, v60, v22, -v99
	v_fmac_f32_e32 v104, v69, v42
	v_fmac_f32_e32 v108, v55, v38
	v_fmac_f32_e32 v82, v83, v4
	v_fma_f32 v83, v84, v6, -v50
	v_add_f32_e32 v50, v48, v57
	v_add_f32_e32 v55, v49, v56
	v_mul_f32_e32 v110, v58, v33
	v_mul_f32_e32 v112, v62, v35
	;; [unrolled: 1-line block ×5, first 2 shown]
	v_fmac_f32_e32 v100, v61, v22
	v_fma_f32 v68, v58, v32, -v109
	v_fma_f32 v76, v76, v2, -v51
	v_add_f32_e32 v51, v87, v104
	v_sub_f32_e32 v48, v48, v57
	v_add_f32_e32 v57, v89, v102
	v_sub_f32_e32 v49, v49, v56
	;; [unrolled: 2-line block ×3, first 2 shown]
	v_add_f32_e32 v60, v55, v50
	v_mul_f32_e32 v111, v63, v35
	v_mul_f32_e32 v116, v70, v27
	v_fmac_f32_e32 v110, v59, v32
	v_fmac_f32_e32 v112, v63, v34
	v_fma_f32 v63, v66, v24, -v113
	v_fmac_f32_e32 v114, v67, v24
	v_fma_f32 v66, v70, v26, -v115
	v_mul_f32_e32 v86, v74, v1
	v_mul_f32_e32 v84, v84, v7
	v_sub_f32_e32 v56, v89, v102
	v_add_f32_e32 v59, v91, v100
	v_sub_f32_e32 v53, v100, v91
	v_add_f32_e32 v61, v57, v51
	v_sub_f32_e32 v67, v55, v50
	v_sub_f32_e32 v50, v50, v58
	;; [unrolled: 1-line block ×3, first 2 shown]
	v_add_f32_e32 v70, v52, v49
	v_add_f32_e32 v58, v58, v60
	v_fmac_f32_e32 v86, v75, v0
	v_fmac_f32_e32 v84, v85, v6
	v_sub_f32_e32 v54, v87, v104
	v_sub_f32_e32 v69, v57, v51
	;; [unrolled: 1-line block ×8, first 2 shown]
	v_add_f32_e32 v59, v59, v61
	v_add_f32_e32 v60, v70, v48
	;; [unrolled: 1-line block ×3, first 2 shown]
	v_fmac_f32_e32 v116, v71, v26
	v_add_f32_e32 v71, v53, v56
	v_sub_f32_e32 v56, v56, v54
	v_add_f32_e32 v49, v45, v59
	v_mul_f32_e32 v70, 0xbf08b237, v75
	v_mov_b32_e32 v75, v48
	v_sub_f32_e32 v53, v54, v53
	v_add_f32_e32 v54, v71, v54
	v_mul_f32_e32 v44, 0x3f4a47b2, v50
	v_mul_f32_e32 v45, 0x3f4a47b2, v51
	;; [unrolled: 1-line block ×7, first 2 shown]
	v_fmac_f32_e32 v75, 0xbf955555, v58
	v_mov_b32_e32 v58, v49
	v_fmac_f32_e32 v58, 0xbf955555, v59
	v_fma_f32 v50, v67, s5, -v50
	v_fma_f32 v51, v69, s5, -v51
	;; [unrolled: 1-line block ×3, first 2 shown]
	v_fmac_f32_e32 v44, 0x3d64c772, v55
	v_fma_f32 v55, v69, s14, -v45
	v_fma_f32 v56, v56, s4, -v70
	v_fmac_f32_e32 v70, 0x3eae86e6, v53
	v_fma_f32 v67, v52, s16, -v71
	v_fma_f32 v69, v53, s16, -v74
	v_fmac_f32_e32 v45, 0x3d64c772, v57
	v_fma_f32 v57, v85, s4, -v61
	v_fmac_f32_e32 v61, 0x3eae86e6, v52
	v_add_f32_e32 v44, v44, v75
	v_add_f32_e32 v71, v50, v75
	;; [unrolled: 1-line block ×4, first 2 shown]
	v_fmac_f32_e32 v70, 0x3ee1c552, v54
	v_fmac_f32_e32 v67, 0x3ee1c552, v60
	;; [unrolled: 1-line block ×3, first 2 shown]
	v_fma_f32 v62, v62, v34, -v111
	v_add_f32_e32 v45, v45, v58
	v_add_f32_e32 v74, v51, v58
	v_fmac_f32_e32 v61, 0x3ee1c552, v60
	v_fmac_f32_e32 v57, 0x3ee1c552, v60
	v_add_f32_e32 v50, v70, v44
	v_add_f32_e32 v52, v69, v59
	v_sub_f32_e32 v53, v75, v67
	v_sub_f32_e32 v58, v59, v69
	v_add_f32_e32 v59, v67, v75
	v_sub_f32_e32 v60, v44, v70
	v_add_f32_e32 v44, v64, v66
	v_add_f32_e32 v67, v65, v63
	v_fmac_f32_e32 v56, 0x3ee1c552, v54
	v_sub_f32_e32 v51, v45, v61
	v_add_f32_e32 v55, v57, v74
	v_sub_f32_e32 v57, v74, v57
	v_add_f32_e32 v61, v61, v45
	v_add_f32_e32 v45, v106, v116
	;; [unrolled: 1-line block ×5, first 2 shown]
	v_sub_f32_e32 v54, v71, v56
	v_add_f32_e32 v56, v56, v71
	v_add_f32_e32 v71, v110, v112
	;; [unrolled: 1-line block ×3, first 2 shown]
	v_sub_f32_e32 v85, v67, v44
	v_sub_f32_e32 v44, v44, v70
	;; [unrolled: 1-line block ×3, first 2 shown]
	v_add_f32_e32 v70, v70, v74
	v_sub_f32_e32 v64, v64, v66
	v_sub_f32_e32 v66, v106, v116
	;; [unrolled: 1-line block ×9, first 2 shown]
	v_add_f32_e32 v71, v71, v75
	v_add_f32_e32 v46, v46, v70
	;; [unrolled: 1-line block ×4, first 2 shown]
	v_sub_f32_e32 v99, v62, v63
	v_sub_f32_e32 v100, v68, v65
	;; [unrolled: 1-line block ×4, first 2 shown]
	v_add_f32_e32 v47, v47, v71
	v_mov_b32_e32 v101, v46
	v_sub_f32_e32 v62, v64, v62
	v_sub_f32_e32 v68, v66, v68
	v_add_f32_e32 v64, v89, v64
	v_add_f32_e32 v66, v91, v66
	v_mul_f32_e32 v44, 0x3f4a47b2, v44
	v_mul_f32_e32 v45, 0x3f4a47b2, v45
	;; [unrolled: 1-line block ×8, first 2 shown]
	v_fmac_f32_e32 v101, 0xbf955555, v70
	v_mov_b32_e32 v70, v47
	v_fmac_f32_e32 v70, 0xbf955555, v71
	v_fma_f32 v71, v85, s5, -v74
	v_fma_f32 v74, v87, s5, -v75
	;; [unrolled: 1-line block ×3, first 2 shown]
	v_fmac_f32_e32 v44, 0x3d64c772, v67
	v_fma_f32 v67, v87, s14, -v45
	v_fma_f32 v85, v65, s4, -v91
	v_fmac_f32_e32 v91, 0x3eae86e6, v68
	v_fma_f32 v87, v62, s16, -v99
	v_fma_f32 v99, v68, s16, -v100
	v_fmac_f32_e32 v45, 0x3d64c772, v69
	v_fma_f32 v69, v63, s4, -v89
	v_fmac_f32_e32 v89, 0x3eae86e6, v62
	v_add_f32_e32 v44, v44, v101
	v_add_f32_e32 v68, v71, v101
	;; [unrolled: 1-line block ×4, first 2 shown]
	v_fmac_f32_e32 v91, 0x3ee1c552, v66
	v_fmac_f32_e32 v85, 0x3ee1c552, v66
	;; [unrolled: 1-line block ×3, first 2 shown]
	v_add_f32_e32 v45, v45, v70
	v_add_f32_e32 v75, v67, v70
	v_fmac_f32_e32 v89, 0x3ee1c552, v64
	v_fmac_f32_e32 v69, 0x3ee1c552, v64
	;; [unrolled: 1-line block ×3, first 2 shown]
	v_add_f32_e32 v62, v91, v44
	v_add_f32_e32 v64, v99, v74
	v_sub_f32_e32 v66, v68, v85
	v_add_f32_e32 v68, v85, v68
	v_sub_f32_e32 v70, v74, v99
	v_sub_f32_e32 v74, v44, v91
	v_add_f32_e32 v44, v90, v83
	v_add_f32_e32 v85, v76, v81
	v_sub_f32_e32 v63, v45, v89
	v_sub_f32_e32 v65, v75, v87
	v_add_f32_e32 v67, v69, v71
	v_sub_f32_e32 v69, v71, v69
	v_add_f32_e32 v71, v87, v75
	v_add_f32_e32 v75, v89, v45
	;; [unrolled: 1-line block ×3, first 2 shown]
	v_sub_f32_e32 v84, v86, v84
	v_add_f32_e32 v86, v88, v82
	v_sub_f32_e32 v76, v76, v81
	v_sub_f32_e32 v81, v88, v82
	v_add_f32_e32 v82, v77, v79
	v_sub_f32_e32 v77, v79, v77
	v_add_f32_e32 v79, v85, v44
	;; [unrolled: 2-line block ×4, first 2 shown]
	v_sub_f32_e32 v88, v85, v44
	v_sub_f32_e32 v90, v44, v82
	v_add_f32_e32 v44, v77, v76
	v_add_f32_e32 v79, v82, v79
	v_sub_f32_e32 v89, v86, v45
	v_sub_f32_e32 v91, v45, v87
	;; [unrolled: 1-line block ×3, first 2 shown]
	v_add_f32_e32 v45, v78, v81
	v_add_f32_e32 v80, v87, v80
	;; [unrolled: 1-line block ×4, first 2 shown]
	v_sub_f32_e32 v86, v87, v86
	v_sub_f32_e32 v99, v77, v76
	;; [unrolled: 1-line block ×4, first 2 shown]
	v_add_f32_e32 v83, v45, v84
	v_add_f32_e32 v45, v73, v80
	v_mov_b32_e32 v101, v44
	v_sub_f32_e32 v100, v78, v81
	v_sub_f32_e32 v78, v84, v78
	;; [unrolled: 1-line block ×3, first 2 shown]
	v_mul_f32_e32 v72, 0x3f4a47b2, v90
	v_mul_f32_e32 v73, 0x3f4a47b2, v91
	;; [unrolled: 1-line block ×5, first 2 shown]
	v_fmac_f32_e32 v101, 0xbf955555, v79
	v_mov_b32_e32 v79, v45
	v_mul_f32_e32 v99, 0x3f5ff5aa, v76
	v_fmac_f32_e32 v79, 0xbf955555, v80
	v_fma_f32 v80, v88, s5, -v84
	v_fma_f32 v84, v89, s5, -v87
	;; [unrolled: 1-line block ×3, first 2 shown]
	v_fmac_f32_e32 v72, 0x3d64c772, v85
	v_fma_f32 v85, v89, s14, -v73
	v_fmac_f32_e32 v73, 0x3d64c772, v86
	v_fma_f32 v76, v76, s4, -v91
	v_fmac_f32_e32 v91, 0x3eae86e6, v77
	v_mul_f32_e32 v90, 0xbf08b237, v100
	v_add_f32_e32 v73, v73, v79
	v_fmac_f32_e32 v91, 0x3ee1c552, v82
	v_mul_f32_e32 v100, 0x3f5ff5aa, v81
	v_fma_f32 v86, v81, s4, -v90
	v_sub_f32_e32 v81, v73, v91
	v_add_f32_e32 v91, v91, v73
	buffer_load_dword v73, off, s[20:23], 0 ; 4-byte Folded Reload
	v_fmac_f32_e32 v90, 0x3eae86e6, v78
	v_add_f32_e32 v72, v72, v101
	v_fmac_f32_e32 v90, 0x3ee1c552, v83
	v_add_f32_e32 v88, v80, v101
	v_add_f32_e32 v80, v90, v72
	v_sub_f32_e32 v90, v72, v90
	v_mul_u32_u24_e32 v72, 0x5b, v94
	v_add_u32_sdwa v72, v72, v95 dst_sel:DWORD dst_unused:UNUSED_PAD src0_sel:DWORD src1_sel:BYTE_0
	v_fma_f32 v77, v77, s16, -v99
	v_fma_f32 v78, v78, s16, -v100
	v_add_f32_e32 v89, v84, v79
	v_add_f32_e32 v99, v87, v101
	;; [unrolled: 1-line block ×3, first 2 shown]
	v_fmac_f32_e32 v76, 0x3ee1c552, v82
	v_fmac_f32_e32 v86, 0x3ee1c552, v83
	;; [unrolled: 1-line block ×4, first 2 shown]
	v_add_f32_e32 v82, v78, v99
	v_sub_f32_e32 v83, v79, v77
	v_sub_f32_e32 v84, v88, v86
	v_add_f32_e32 v85, v76, v89
	v_add_f32_e32 v86, v86, v88
	v_sub_f32_e32 v87, v89, v76
	v_sub_f32_e32 v88, v99, v78
	v_add_f32_e32 v89, v77, v79
	s_waitcnt vmcnt(0)
	v_lshl_add_u32 v255, v72, 3, v73
	ds_write2_b64 v255, v[48:49], v[50:51] offset1:13
	ds_write2_b64 v255, v[52:53], v[54:55] offset0:26 offset1:39
	ds_write2_b64 v255, v[56:57], v[58:59] offset0:52 offset1:65
	ds_write_b64 v255, v[60:61] offset:624
	v_mul_u32_u24_e32 v48, 0x5b, v96
	v_add_u32_sdwa v48, v48, v97 dst_sel:DWORD dst_unused:UNUSED_PAD src0_sel:DWORD src1_sel:BYTE_0
	v_lshl_add_u32 v161, v48, 3, v73
	v_lshl_add_u32 v164, v98, 3, v73
	ds_write2_b64 v161, v[46:47], v[62:63] offset1:13
	ds_write2_b64 v161, v[64:65], v[66:67] offset0:26 offset1:39
	ds_write2_b64 v161, v[68:69], v[70:71] offset0:52 offset1:65
	ds_write_b64 v161, v[74:75] offset:624
	s_and_saveexec_b64 s[4:5], s[2:3]
	s_cbranch_execz .LBB0_11
; %bb.10:
	v_add_u32_e32 v46, 0x2400, v164
	ds_write2_b64 v46, v[44:45], v[80:81] offset0:122 offset1:135
	v_add_u32_e32 v44, 0x2800, v164
	ds_write2_b64 v44, v[82:83], v[84:85] offset0:20 offset1:33
	ds_write2_b64 v44, v[86:87], v[88:89] offset0:46 offset1:59
	ds_write_b64 v164, v[90:91] offset:10816
.LBB0_11:
	s_or_b64 exec, exec, s[4:5]
	s_movk_i32 s4, 0x6817
	v_mul_u32_u24_sdwa v52, v93, s4 dst_sel:DWORD dst_unused:UNUSED_PAD src0_sel:WORD_0 src1_sel:DWORD
	v_sub_u16_sdwa v53, v93, v52 dst_sel:DWORD dst_unused:UNUSED_PAD src0_sel:DWORD src1_sel:WORD_1
	v_lshrrev_b16_e32 v53, 1, v53
	v_add_u16_sdwa v52, v53, v52 dst_sel:DWORD dst_unused:UNUSED_PAD src0_sel:DWORD src1_sel:WORD_1
	v_lshrrev_b16_e32 v52, 6, v52
	v_mul_lo_u16_e32 v52, 0x5b, v52
	v_sub_u16_e32 v109, v93, v52
	v_lshlrev_b32_e32 v107, 5, v138
	v_lshlrev_b16_e32 v52, 5, v109
	s_waitcnt lgkmcnt(0)
	s_barrier
	global_load_dwordx4 v[48:51], v107, s[12:13] offset:624
	global_load_dwordx4 v[44:47], v107, s[12:13] offset:640
	v_mov_b32_e32 v108, s13
	v_add_co_u32_e64 v60, s[4:5], s12, v52
	v_addc_co_u32_e64 v61, s[4:5], 0, v108, s[4:5]
	global_load_dwordx4 v[56:59], v[60:61], off offset:624
	global_load_dwordx4 v[52:55], v[60:61], off offset:640
	ds_read2_b64 v[60:63], v155 offset1:91
	v_add_u32_e32 v99, 0x400, v155
	v_add_u32_e32 v98, 0x1000, v155
	;; [unrolled: 1-line block ×6, first 2 shown]
	ds_read_b64 v[105:106], v155 offset:10192
	ds_read2_b64 v[64:67], v99 offset0:54 offset1:145
	ds_read2_b64 v[68:71], v98 offset0:34 offset1:125
	;; [unrolled: 1-line block ×6, first 2 shown]
	s_waitcnt vmcnt(0) lgkmcnt(0)
	s_barrier
	v_add_co_u32_e64 v107, s[4:5], s12, v107
	v_lshlrev_b32_e32 v111, 4, v138
	v_addc_co_u32_e64 v108, s[4:5], 0, v108, s[4:5]
	v_mul_f32_e32 v115, v66, v49
	v_mul_f32_e32 v116, v69, v51
	;; [unrolled: 1-line block ×7, first 2 shown]
	v_fmac_f32_e32 v115, v67, v48
	v_fma_f32 v116, v68, v50, -v116
	v_fma_f32 v74, v74, v44, -v118
	v_mul_f32_e32 v67, v97, v57
	v_mul_f32_e32 v117, v68, v51
	;; [unrolled: 1-line block ×6, first 2 shown]
	v_fmac_f32_e32 v166, v101, v44
	v_fma_f32 v101, v78, v46, -v167
	v_mul_f32_e32 v68, v73, v59
	v_fma_f32 v167, v96, v56, -v67
	v_add_f32_e32 v67, v116, v74
	v_mul_f32_e32 v151, v77, v47
	v_mul_f32_e32 v153, v95, v49
	;; [unrolled: 1-line block ×3, first 2 shown]
	v_fmac_f32_e32 v152, v77, v46
	v_fmac_f32_e32 v154, v95, v48
	v_fma_f32 v95, v70, v50, -v158
	v_mul_f32_e32 v158, v102, v53
	v_mul_f32_e32 v70, v106, v55
	v_fma_f32 v169, v72, v58, -v68
	v_fma_f32 v68, -0.5, v67, v60
	v_fma_f32 v114, v66, v48, -v114
	v_fmac_f32_e32 v117, v69, v50
	v_fmac_f32_e32 v119, v75, v44
	v_fma_f32 v75, v76, v46, -v151
	v_mul_f32_e32 v69, v103, v53
	v_fmac_f32_e32 v158, v103, v52
	v_fma_f32 v103, v105, v54, -v70
	v_sub_f32_e32 v67, v115, v152
	v_mov_b32_e32 v70, v68
	v_fma_f32 v118, v94, v48, -v153
	v_fmac_f32_e32 v162, v71, v50
	v_mul_f32_e32 v153, v72, v59
	v_fma_f32 v170, v102, v52, -v69
	v_fmac_f32_e32 v70, 0x3f737871, v67
	v_sub_f32_e32 v69, v117, v119
	v_sub_f32_e32 v71, v114, v116
	;; [unrolled: 1-line block ×3, first 2 shown]
	v_fmac_f32_e32 v68, 0xbf737871, v67
	v_fmac_f32_e32 v70, 0x3f167918, v69
	v_add_f32_e32 v71, v71, v72
	v_fmac_f32_e32 v68, 0xbf167918, v69
	v_fmac_f32_e32 v70, 0x3e9e377a, v71
	;; [unrolled: 1-line block ×3, first 2 shown]
	v_add_f32_e32 v71, v114, v75
	v_add_f32_e32 v66, v60, v114
	v_fma_f32 v60, -0.5, v71, v60
	v_mov_b32_e32 v72, v60
	v_add_f32_e32 v66, v66, v116
	v_fmac_f32_e32 v153, v73, v58
	v_fmac_f32_e32 v72, 0xbf737871, v69
	v_sub_f32_e32 v71, v116, v114
	v_sub_f32_e32 v73, v74, v75
	v_fmac_f32_e32 v60, 0x3f737871, v69
	v_add_f32_e32 v69, v117, v119
	v_add_f32_e32 v66, v66, v74
	v_fmac_f32_e32 v72, 0x3f167918, v67
	v_add_f32_e32 v71, v71, v73
	v_fmac_f32_e32 v60, 0xbf167918, v67
	v_fma_f32 v69, -0.5, v69, v61
	v_add_f32_e32 v66, v66, v75
	v_fmac_f32_e32 v72, 0x3e9e377a, v71
	v_fmac_f32_e32 v60, 0x3e9e377a, v71
	v_sub_f32_e32 v75, v114, v75
	v_mov_b32_e32 v71, v69
	v_fmac_f32_e32 v71, 0xbf737871, v75
	v_sub_f32_e32 v74, v116, v74
	v_sub_f32_e32 v73, v115, v117
	;; [unrolled: 1-line block ×3, first 2 shown]
	v_fmac_f32_e32 v69, 0x3f737871, v75
	v_fmac_f32_e32 v71, 0xbf167918, v74
	v_add_f32_e32 v73, v73, v76
	v_fmac_f32_e32 v69, 0x3f167918, v74
	v_fmac_f32_e32 v71, 0x3e9e377a, v73
	;; [unrolled: 1-line block ×3, first 2 shown]
	v_add_f32_e32 v73, v115, v152
	v_add_f32_e32 v67, v61, v115
	v_fma_f32 v61, -0.5, v73, v61
	v_mov_b32_e32 v73, v61
	v_fma_f32 v100, v100, v44, -v165
	v_fmac_f32_e32 v73, 0x3f737871, v74
	v_sub_f32_e32 v76, v117, v115
	v_sub_f32_e32 v77, v119, v152
	v_fmac_f32_e32 v61, 0xbf737871, v74
	v_mul_f32_e32 v168, v78, v47
	v_fmac_f32_e32 v73, 0xbf167918, v75
	v_add_f32_e32 v76, v76, v77
	v_fmac_f32_e32 v61, 0x3f167918, v75
	v_add_f32_e32 v75, v95, v100
	v_fmac_f32_e32 v168, v79, v46
	v_fmac_f32_e32 v73, 0x3e9e377a, v76
	;; [unrolled: 1-line block ×3, first 2 shown]
	v_fma_f32 v76, -0.5, v75, v62
	v_sub_f32_e32 v75, v154, v168
	v_mov_b32_e32 v78, v76
	v_fmac_f32_e32 v78, 0x3f737871, v75
	v_sub_f32_e32 v77, v162, v166
	v_sub_f32_e32 v79, v118, v95
	;; [unrolled: 1-line block ×3, first 2 shown]
	v_fmac_f32_e32 v76, 0xbf737871, v75
	v_fmac_f32_e32 v78, 0x3f167918, v77
	v_add_f32_e32 v79, v79, v94
	v_fmac_f32_e32 v76, 0xbf167918, v77
	v_fmac_f32_e32 v78, 0x3e9e377a, v79
	;; [unrolled: 1-line block ×3, first 2 shown]
	v_add_f32_e32 v79, v118, v101
	v_add_f32_e32 v74, v62, v118
	v_fma_f32 v62, -0.5, v79, v62
	v_mov_b32_e32 v94, v62
	v_mul_f32_e32 v151, v96, v57
	v_fmac_f32_e32 v94, 0xbf737871, v77
	v_sub_f32_e32 v79, v95, v118
	v_sub_f32_e32 v96, v100, v101
	v_fmac_f32_e32 v62, 0x3f737871, v77
	v_add_f32_e32 v77, v162, v166
	v_fmac_f32_e32 v94, 0x3f167918, v75
	v_add_f32_e32 v79, v79, v96
	v_fmac_f32_e32 v62, 0xbf167918, v75
	v_fma_f32 v77, -0.5, v77, v63
	v_add_f32_e32 v74, v74, v95
	v_fmac_f32_e32 v94, 0x3e9e377a, v79
	v_fmac_f32_e32 v62, 0x3e9e377a, v79
	v_sub_f32_e32 v96, v118, v101
	v_mov_b32_e32 v79, v77
	v_fmac_f32_e32 v151, v97, v56
	v_add_f32_e32 v74, v74, v100
	v_fmac_f32_e32 v79, 0xbf737871, v96
	v_sub_f32_e32 v97, v95, v100
	v_sub_f32_e32 v95, v154, v162
	;; [unrolled: 1-line block ×3, first 2 shown]
	v_fmac_f32_e32 v77, 0x3f737871, v96
	v_fmac_f32_e32 v79, 0xbf167918, v97
	v_add_f32_e32 v95, v95, v100
	v_fmac_f32_e32 v77, 0x3f167918, v97
	v_fmac_f32_e32 v79, 0x3e9e377a, v95
	;; [unrolled: 1-line block ×3, first 2 shown]
	v_add_f32_e32 v95, v154, v168
	v_add_f32_e32 v75, v63, v154
	v_fmac_f32_e32 v63, -0.5, v95
	v_add_f32_e32 v67, v67, v117
	v_mov_b32_e32 v95, v63
	v_add_f32_e32 v67, v67, v119
	v_add_f32_e32 v74, v74, v101
	;; [unrolled: 1-line block ×3, first 2 shown]
	v_fmac_f32_e32 v95, 0x3f737871, v97
	v_sub_f32_e32 v100, v162, v154
	v_sub_f32_e32 v101, v166, v168
	v_fmac_f32_e32 v63, 0xbf737871, v97
	v_add_f32_e32 v67, v67, v152
	v_add_f32_e32 v75, v75, v166
	v_fmac_f32_e32 v95, 0xbf167918, v96
	v_add_f32_e32 v100, v100, v101
	v_fmac_f32_e32 v63, 0x3f167918, v96
	;; [unrolled: 2-line block ×3, first 2 shown]
	v_fmac_f32_e32 v63, 0x3e9e377a, v100
	ds_write2_b64 v155, v[66:67], v[70:71] offset1:91
	ds_write2_b64 v99, v[72:73], v[60:61] offset0:54 offset1:145
	ds_write2_b64 v113, v[68:69], v[74:75] offset0:108 offset1:199
	;; [unrolled: 1-line block ×4, first 2 shown]
	buffer_load_dword v146, off, s[20:23], 0 ; 4-byte Folded Reload
	v_mul_f32_e32 v165, v105, v55
	v_add_f32_e32 v97, v169, v170
	v_fmac_f32_e32 v165, v106, v54
	v_fma_f32 v100, -0.5, v97, v64
	v_sub_f32_e32 v97, v151, v165
	v_mov_b32_e32 v102, v100
	v_fmac_f32_e32 v102, 0x3f737871, v97
	v_sub_f32_e32 v101, v153, v158
	v_sub_f32_e32 v105, v167, v169
	;; [unrolled: 1-line block ×3, first 2 shown]
	v_fmac_f32_e32 v100, 0xbf737871, v97
	v_fmac_f32_e32 v102, 0x3f167918, v101
	v_add_f32_e32 v105, v105, v106
	v_fmac_f32_e32 v100, 0xbf167918, v101
	v_fmac_f32_e32 v102, 0x3e9e377a, v105
	;; [unrolled: 1-line block ×3, first 2 shown]
	v_add_f32_e32 v105, v167, v103
	v_add_f32_e32 v96, v64, v167
	v_fma_f32 v64, -0.5, v105, v64
	v_mov_b32_e32 v105, v64
	v_add_f32_e32 v96, v96, v169
	v_fmac_f32_e32 v105, 0xbf737871, v101
	v_fmac_f32_e32 v64, 0x3f737871, v101
	v_add_f32_e32 v101, v153, v158
	v_add_f32_e32 v96, v96, v170
	v_sub_f32_e32 v106, v169, v167
	v_sub_f32_e32 v114, v170, v103
	v_fma_f32 v101, -0.5, v101, v65
	v_add_f32_e32 v96, v96, v103
	v_fmac_f32_e32 v105, 0x3f167918, v97
	v_add_f32_e32 v106, v106, v114
	v_fmac_f32_e32 v64, 0xbf167918, v97
	v_sub_f32_e32 v114, v167, v103
	v_mov_b32_e32 v103, v101
	v_fmac_f32_e32 v105, 0x3e9e377a, v106
	v_fmac_f32_e32 v64, 0x3e9e377a, v106
	v_fmac_f32_e32 v103, 0xbf737871, v114
	v_sub_f32_e32 v115, v169, v170
	v_sub_f32_e32 v106, v151, v153
	v_sub_f32_e32 v116, v165, v158
	v_fmac_f32_e32 v101, 0x3f737871, v114
	v_fmac_f32_e32 v103, 0xbf167918, v115
	v_add_f32_e32 v106, v106, v116
	v_fmac_f32_e32 v101, 0x3f167918, v115
	v_fmac_f32_e32 v103, 0x3e9e377a, v106
	;; [unrolled: 1-line block ×3, first 2 shown]
	v_add_f32_e32 v106, v151, v165
	v_add_f32_e32 v97, v65, v151
	v_fmac_f32_e32 v65, -0.5, v106
	v_add_f32_e32 v97, v97, v153
	v_mov_b32_e32 v106, v65
	v_add_f32_e32 v97, v97, v158
	v_fmac_f32_e32 v106, 0x3f737871, v115
	v_sub_f32_e32 v116, v153, v151
	v_sub_f32_e32 v117, v158, v165
	v_fmac_f32_e32 v65, 0xbf737871, v115
	v_add_f32_e32 v97, v97, v165
	v_fmac_f32_e32 v106, 0xbf167918, v114
	v_add_f32_e32 v116, v116, v117
	v_fmac_f32_e32 v65, 0x3f167918, v114
	v_fmac_f32_e32 v106, 0x3e9e377a, v116
	;; [unrolled: 1-line block ×3, first 2 shown]
	v_lshlrev_b32_e32 v68, 4, v93
	v_add_u32_e32 v72, 0x1110, v111
	v_add_u32_e32 v76, 0x16c0, v111
	s_waitcnt vmcnt(0)
	v_lshl_add_u32 v162, v109, 3, v146
	v_add_u32_e32 v60, 0x1800, v162
	ds_write2_b64 v60, v[96:97], v[102:103] offset0:142 offset1:233
	v_add_u32_e32 v60, 0x2000, v162
	ds_write2_b64 v60, v[105:106], v[64:65] offset0:68 offset1:159
	ds_write_b64 v162, v[100:101] offset:10192
	v_sub_co_u32_e64 v60, s[4:5], v107, v111
	v_subbrev_co_u32_e64 v61, s[4:5], 0, v108, s[4:5]
	s_waitcnt lgkmcnt(0)
	s_barrier
	global_load_dwordx4 v[60:63], v[60:61], off offset:3536
	v_lshlrev_b32_e32 v64, 4, v92
	global_load_dwordx4 v[64:67], v64, s[12:13] offset:3536
	v_mov_b32_e32 v92, s15
	global_load_dwordx4 v[68:71], v68, s[12:13] offset:3536
	v_addc_co_u32_e32 v111, vcc, 0, v92, vcc
	global_load_dwordx4 v[72:75], v72, s[12:13] offset:3536
	s_movk_i32 s4, 0x2aa8
	global_load_dwordx4 v[76:79], v76, s[12:13] offset:3536
	ds_read2_b64 v[100:103], v155 offset1:91
	ds_read2_b64 v[94:97], v113 offset0:108 offset1:199
	ds_read2_b64 v[105:108], v104 offset0:142 offset1:233
	;; [unrolled: 1-line block ×6, first 2 shown]
	ds_read_b64 v[92:93], v155 offset:10192
	s_movk_i32 s12, 0x2000
	s_movk_i32 s13, 0x1000
	s_waitcnt vmcnt(4) lgkmcnt(6)
	v_mul_f32_e32 v109, v97, v61
	v_fma_f32 v109, v96, v60, -v109
	v_mul_f32_e32 v110, v96, v61
	s_waitcnt lgkmcnt(5)
	v_mul_f32_e32 v96, v106, v63
	v_fma_f32 v117, v105, v62, -v96
	s_waitcnt vmcnt(3) lgkmcnt(4)
	v_mul_f32_e32 v96, v114, v65
	v_fma_f32 v119, v113, v64, -v96
	v_mul_f32_e32 v158, v113, v65
	v_mul_f32_e32 v96, v108, v67
	v_fmac_f32_e32 v158, v114, v64
	v_fma_f32 v114, v107, v66, -v96
	s_waitcnt vmcnt(2)
	v_mul_f32_e32 v96, v116, v69
	v_fma_f32 v174, v115, v68, -v96
	s_waitcnt lgkmcnt(2)
	v_mul_f32_e32 v96, v166, v71
	v_fma_f32 v176, v165, v70, -v96
	s_waitcnt vmcnt(1) lgkmcnt(1)
	v_mul_f32_e32 v96, v170, v73
	v_fma_f32 v177, v169, v72, -v96
	v_mul_f32_e32 v169, v169, v73
	v_mul_f32_e32 v96, v168, v75
	v_fmac_f32_e32 v169, v170, v72
	v_fma_f32 v170, v167, v74, -v96
	s_waitcnt vmcnt(0)
	v_mul_f32_e32 v96, v172, v77
	v_fma_f32 v179, v171, v76, -v96
	v_mul_f32_e32 v171, v171, v77
	s_waitcnt lgkmcnt(0)
	v_mul_f32_e32 v96, v93, v79
	v_fmac_f32_e32 v171, v172, v76
	v_fma_f32 v172, v92, v78, -v96
	v_mul_f32_e32 v180, v92, v79
	v_add_f32_e32 v92, v100, v109
	v_mul_f32_e32 v118, v105, v63
	v_add_f32_e32 v96, v92, v117
	v_add_f32_e32 v92, v109, v117
	v_fmac_f32_e32 v110, v97, v60
	v_fmac_f32_e32 v118, v106, v62
	v_fma_f32 v105, -0.5, v92, v100
	v_mul_f32_e32 v173, v107, v67
	v_sub_f32_e32 v92, v110, v118
	v_mov_b32_e32 v107, v105
	v_fmac_f32_e32 v107, 0x3f5db3d7, v92
	v_fmac_f32_e32 v105, 0xbf5db3d7, v92
	v_add_f32_e32 v92, v101, v110
	v_add_f32_e32 v97, v92, v118
	;; [unrolled: 1-line block ×3, first 2 shown]
	v_fma_f32 v106, -0.5, v92, v101
	v_fmac_f32_e32 v173, v108, v66
	v_sub_f32_e32 v92, v109, v117
	v_mov_b32_e32 v108, v106
	v_fmac_f32_e32 v108, 0xbf5db3d7, v92
	v_fmac_f32_e32 v106, 0x3f5db3d7, v92
	v_add_f32_e32 v92, v102, v119
	v_add_f32_e32 v109, v92, v114
	;; [unrolled: 1-line block ×3, first 2 shown]
	v_fma_f32 v102, -0.5, v92, v102
	v_sub_f32_e32 v92, v158, v173
	v_mov_b32_e32 v113, v102
	v_fmac_f32_e32 v113, 0x3f5db3d7, v92
	v_fmac_f32_e32 v102, 0xbf5db3d7, v92
	v_add_f32_e32 v92, v103, v158
	v_add_f32_e32 v110, v92, v173
	;; [unrolled: 1-line block ×3, first 2 shown]
	v_fmac_f32_e32 v103, -0.5, v92
	v_sub_f32_e32 v92, v119, v114
	v_mov_b32_e32 v114, v103
	v_fmac_f32_e32 v114, 0xbf5db3d7, v92
	v_fmac_f32_e32 v103, 0x3f5db3d7, v92
	v_add_f32_e32 v92, v151, v174
	v_mul_f32_e32 v175, v115, v69
	v_mul_f32_e32 v165, v165, v71
	v_add_f32_e32 v115, v92, v176
	v_add_f32_e32 v92, v174, v176
	v_fmac_f32_e32 v175, v116, v68
	v_fmac_f32_e32 v165, v166, v70
	v_fma_f32 v117, -0.5, v92, v151
	v_sub_f32_e32 v92, v175, v165
	v_mov_b32_e32 v151, v117
	v_fmac_f32_e32 v151, 0x3f5db3d7, v92
	v_fmac_f32_e32 v117, 0xbf5db3d7, v92
	v_add_f32_e32 v92, v152, v175
	v_add_f32_e32 v116, v92, v165
	;; [unrolled: 1-line block ×3, first 2 shown]
	v_fma_f32 v118, -0.5, v92, v152
	v_sub_f32_e32 v92, v174, v176
	v_mov_b32_e32 v152, v118
	v_fmac_f32_e32 v152, 0xbf5db3d7, v92
	v_fmac_f32_e32 v118, 0x3f5db3d7, v92
	v_add_f32_e32 v92, v153, v177
	v_mul_f32_e32 v178, v167, v75
	v_add_f32_e32 v165, v92, v170
	v_add_f32_e32 v92, v177, v170
	v_fmac_f32_e32 v178, v168, v74
	v_fma_f32 v153, -0.5, v92, v153
	v_sub_f32_e32 v92, v169, v178
	v_mov_b32_e32 v167, v153
	v_fmac_f32_e32 v167, 0x3f5db3d7, v92
	v_fmac_f32_e32 v153, 0xbf5db3d7, v92
	v_add_f32_e32 v92, v154, v169
	v_add_f32_e32 v166, v92, v178
	;; [unrolled: 1-line block ×3, first 2 shown]
	v_fmac_f32_e32 v154, -0.5, v92
	v_sub_f32_e32 v92, v177, v170
	v_mov_b32_e32 v168, v154
	v_fmac_f32_e32 v168, 0xbf5db3d7, v92
	v_fmac_f32_e32 v154, 0x3f5db3d7, v92
	v_add_f32_e32 v92, v94, v179
	v_add_f32_e32 v169, v92, v172
	;; [unrolled: 1-line block ×3, first 2 shown]
	v_fmac_f32_e32 v180, v93, v78
	v_fma_f32 v94, -0.5, v92, v94
	v_sub_f32_e32 v93, v171, v180
	v_mov_b32_e32 v92, v94
	v_fmac_f32_e32 v92, 0x3f5db3d7, v93
	v_fmac_f32_e32 v94, 0xbf5db3d7, v93
	v_add_f32_e32 v93, v95, v171
	v_add_f32_e32 v170, v93, v180
	;; [unrolled: 1-line block ×3, first 2 shown]
	v_fmac_f32_e32 v95, -0.5, v93
	v_sub_f32_e32 v100, v179, v172
	v_mov_b32_e32 v93, v95
	v_lshl_add_u32 v158, v138, 3, v146
	v_fmac_f32_e32 v93, 0xbf5db3d7, v100
	v_fmac_f32_e32 v95, 0x3f5db3d7, v100
	ds_write_b64 v155, v[96:97]
	v_add_u32_e32 v100, 0xc00, v158
	v_add_u32_e32 v96, 0x1800, v158
	ds_write2_b64 v100, v[107:108], v[113:114] offset0:71 offset1:162
	ds_write2_b64 v96, v[105:106], v[102:103] offset0:142 offset1:233
	;; [unrolled: 1-line block ×3, first 2 shown]
	ds_write_b64 v155, v[151:152] offset:5096
	ds_write_b64 v155, v[117:118] offset:8736
	;; [unrolled: 1-line block ×8, first 2 shown]
	v_add_co_u32_e32 v96, vcc, s12, v120
	v_addc_co_u32_e32 v97, vcc, 0, v111, vcc
	s_waitcnt lgkmcnt(0)
	s_barrier
	global_load_dwordx2 v[101:102], v[96:97], off offset:2728
	v_add_co_u32_e32 v96, vcc, s4, v120
	v_addc_co_u32_e32 v97, vcc, 0, v111, vcc
	global_load_dwordx2 v[109:110], v[96:97], off offset:840
	global_load_dwordx2 v[117:118], v[96:97], off offset:1680
	;; [unrolled: 1-line block ×4, first 2 shown]
	s_movk_i32 s4, 0x3000
	v_add_co_u32_e32 v105, vcc, s4, v120
	v_addc_co_u32_e32 v106, vcc, 0, v111, vcc
	global_load_dwordx2 v[165:166], v[105:106], off offset:2832
	global_load_dwordx2 v[167:168], v[105:106], off offset:3672
	s_movk_i32 s4, 0x4000
	v_add_co_u32_e32 v105, vcc, s4, v120
	v_addc_co_u32_e32 v106, vcc, 0, v111, vcc
	global_load_dwordx2 v[169:170], v[105:106], off offset:416
	global_load_dwordx2 v[171:172], v[105:106], off offset:1256
	;; [unrolled: 1-line block ×5, first 2 shown]
	v_add_co_u32_e32 v105, vcc, 0x5000, v120
	v_addc_co_u32_e32 v106, vcc, 0, v111, vcc
	global_load_dwordx2 v[179:180], v[105:106], off offset:520
	ds_read2_b64 v[105:108], v155 offset1:105
	ds_read2_b64 v[113:116], v99 offset0:82 offset1:187
	s_waitcnt vmcnt(12) lgkmcnt(1)
	v_mul_f32_e32 v103, v106, v102
	v_mul_f32_e32 v182, v105, v102
	v_fma_f32 v181, v105, v101, -v103
	v_fmac_f32_e32 v182, v106, v101
	s_waitcnt vmcnt(11)
	v_mul_f32_e32 v101, v108, v110
	v_mul_f32_e32 v102, v107, v110
	v_fma_f32 v101, v107, v109, -v101
	v_fmac_f32_e32 v102, v108, v109
	ds_write2_b64 v155, v[181:182], v[101:102] offset1:105
	s_waitcnt vmcnt(10) lgkmcnt(1)
	v_mul_f32_e32 v101, v114, v118
	v_fma_f32 v102, v113, v117, -v101
	v_add_u32_e32 v101, 0xc00, v155
	ds_read2_b64 v[105:108], v101 offset0:36 offset1:141
	v_mul_f32_e32 v103, v113, v118
	s_waitcnt vmcnt(9)
	v_mul_f32_e32 v109, v116, v152
	v_mul_f32_e32 v110, v115, v152
	v_fmac_f32_e32 v103, v114, v117
	v_fma_f32 v109, v115, v151, -v109
	v_fmac_f32_e32 v110, v116, v151
	ds_write2_b64 v99, v[102:103], v[109:110] offset0:82 offset1:187
	s_waitcnt vmcnt(8) lgkmcnt(1)
	v_mul_f32_e32 v102, v106, v154
	v_mul_f32_e32 v103, v105, v154
	v_fma_f32 v102, v105, v153, -v102
	v_fmac_f32_e32 v103, v106, v153
	s_waitcnt vmcnt(7)
	v_mul_f32_e32 v105, v108, v166
	ds_read2_b64 v[113:116], v98 offset0:118 offset1:223
	v_mul_f32_e32 v106, v107, v166
	v_fma_f32 v105, v107, v165, -v105
	v_fmac_f32_e32 v106, v108, v165
	ds_write2_b64 v101, v[102:103], v[105:106] offset0:36 offset1:141
	ds_read2_b64 v[105:108], v104 offset0:72 offset1:177
	s_waitcnt vmcnt(6) lgkmcnt(2)
	v_mul_f32_e32 v102, v114, v168
	v_mul_f32_e32 v103, v113, v168
	s_waitcnt vmcnt(5)
	v_mul_f32_e32 v109, v116, v170
	v_mul_f32_e32 v110, v115, v170
	v_fma_f32 v102, v113, v167, -v102
	v_fmac_f32_e32 v103, v114, v167
	v_fma_f32 v109, v115, v169, -v109
	v_fmac_f32_e32 v110, v116, v169
	ds_write2_b64 v98, v[102:103], v[109:110] offset0:118 offset1:223
	s_waitcnt vmcnt(4) lgkmcnt(1)
	v_mul_f32_e32 v102, v106, v172
	v_mul_f32_e32 v103, v105, v172
	v_fma_f32 v102, v105, v171, -v102
	v_fmac_f32_e32 v103, v106, v171
	s_waitcnt vmcnt(3)
	v_mul_f32_e32 v105, v108, v174
	ds_read2_b64 v[113:116], v112 offset0:26 offset1:131
	v_mul_f32_e32 v106, v107, v174
	v_fma_f32 v105, v107, v173, -v105
	v_fmac_f32_e32 v106, v108, v173
	ds_write2_b64 v104, v[102:103], v[105:106] offset0:72 offset1:177
	ds_read_b64 v[105:106], v155 offset:10080
	s_waitcnt vmcnt(2) lgkmcnt(2)
	v_mul_f32_e32 v102, v114, v176
	v_mul_f32_e32 v103, v113, v176
	s_waitcnt vmcnt(1)
	v_mul_f32_e32 v107, v116, v178
	v_mul_f32_e32 v108, v115, v178
	v_fma_f32 v102, v113, v175, -v102
	v_fmac_f32_e32 v103, v114, v175
	v_fma_f32 v107, v115, v177, -v107
	v_fmac_f32_e32 v108, v116, v177
	ds_write2_b64 v112, v[102:103], v[107:108] offset0:26 offset1:131
	s_waitcnt vmcnt(0) lgkmcnt(1)
	v_mul_f32_e32 v102, v106, v180
	v_mul_f32_e32 v103, v105, v180
	v_fma_f32 v102, v105, v179, -v102
	v_fmac_f32_e32 v103, v106, v179
	ds_write_b64 v155, v[102:103] offset:10080
	s_and_saveexec_b64 s[4:5], s[0:1]
	s_cbranch_execz .LBB0_13
; %bb.12:
	v_add_co_u32_e32 v105, vcc, s13, v96
	v_addc_co_u32_e32 v106, vcc, 0, v97, vcc
	global_load_dwordx2 v[102:103], v[96:97], off offset:728
	global_load_dwordx2 v[109:110], v[96:97], off offset:1568
	;; [unrolled: 1-line block ×5, first 2 shown]
	v_add_co_u32_e32 v96, vcc, s12, v96
	global_load_dwordx2 v[181:182], v[105:106], off offset:832
	global_load_dwordx2 v[183:184], v[105:106], off offset:1672
	;; [unrolled: 1-line block ×4, first 2 shown]
	v_addc_co_u32_e32 v97, vcc, 0, v97, vcc
	global_load_dwordx2 v[189:190], v[96:97], off offset:96
	global_load_dwordx2 v[191:192], v[96:97], off offset:936
	;; [unrolled: 1-line block ×3, first 2 shown]
	s_nop 0
	global_load_dwordx2 v[96:97], v[96:97], off offset:2616
	ds_read2_b64 v[105:108], v158 offset0:91 offset1:196
	ds_read2_b64 v[113:116], v100 offset0:127 offset1:232
	v_add_u32_e32 v199, 0x800, v158
	v_add_u32_e32 v200, 0x1400, v158
	;; [unrolled: 1-line block ×4, first 2 shown]
	ds_read_b64 v[195:196], v158 offset:10808
	ds_read2_b64 v[151:154], v199 offset0:45 offset1:150
	ds_read2_b64 v[165:168], v200 offset0:81 offset1:186
	;; [unrolled: 1-line block ×4, first 2 shown]
	s_waitcnt vmcnt(12) lgkmcnt(6)
	v_mul_f32_e32 v197, v106, v103
	v_mul_f32_e32 v111, v105, v103
	s_waitcnt vmcnt(11)
	v_mul_f32_e32 v203, v108, v110
	v_mul_f32_e32 v103, v107, v110
	s_waitcnt vmcnt(10) lgkmcnt(3)
	v_mul_f32_e32 v204, v152, v118
	v_mul_f32_e32 v119, v151, v118
	s_waitcnt vmcnt(9)
	v_mul_f32_e32 v205, v154, v178
	v_mul_f32_e32 v198, v153, v178
	s_waitcnt vmcnt(8)
	v_mul_f32_e32 v206, v114, v180
	v_mul_f32_e32 v178, v113, v180
	v_fma_f32 v110, v105, v102, -v197
	v_fmac_f32_e32 v111, v106, v102
	s_waitcnt vmcnt(7)
	v_mul_f32_e32 v105, v116, v182
	v_mul_f32_e32 v106, v115, v182
	v_fma_f32 v102, v107, v109, -v203
	v_fmac_f32_e32 v103, v108, v109
	v_fma_f32 v118, v151, v117, -v204
	v_fmac_f32_e32 v119, v152, v117
	;; [unrolled: 2-line block ×4, first 2 shown]
	s_waitcnt vmcnt(6) lgkmcnt(2)
	v_mul_f32_e32 v107, v166, v184
	v_mul_f32_e32 v108, v165, v184
	s_waitcnt vmcnt(5)
	v_mul_f32_e32 v109, v168, v186
	v_mul_f32_e32 v114, v167, v186
	s_waitcnt vmcnt(4) lgkmcnt(1)
	v_mul_f32_e32 v151, v170, v188
	v_mul_f32_e32 v117, v169, v188
	s_waitcnt vmcnt(3)
	v_mul_f32_e32 v153, v172, v190
	v_mul_f32_e32 v152, v171, v190
	v_fma_f32 v105, v115, v181, -v105
	v_fmac_f32_e32 v106, v116, v181
	s_waitcnt vmcnt(2) lgkmcnt(0)
	v_mul_f32_e32 v179, v174, v192
	v_mul_f32_e32 v154, v173, v192
	s_waitcnt vmcnt(1)
	v_mul_f32_e32 v182, v176, v194
	v_mul_f32_e32 v180, v175, v194
	ds_write2_b64 v158, v[110:111], v[102:103] offset0:91 offset1:196
	ds_write2_b64 v199, v[118:119], v[197:198] offset0:45 offset1:150
	v_fma_f32 v107, v165, v183, -v107
	v_fmac_f32_e32 v108, v166, v183
	v_fma_f32 v113, v167, v185, -v109
	v_fmac_f32_e32 v114, v168, v185
	;; [unrolled: 2-line block ×4, first 2 shown]
	ds_write2_b64 v100, v[177:178], v[105:106] offset0:127 offset1:232
	ds_write2_b64 v200, v[107:108], v[113:114] offset0:81 offset1:186
	;; [unrolled: 1-line block ×3, first 2 shown]
	s_waitcnt vmcnt(0)
	v_mul_f32_e32 v100, v196, v97
	v_mul_f32_e32 v103, v195, v97
	v_fma_f32 v153, v173, v191, -v179
	v_fmac_f32_e32 v154, v174, v191
	v_fma_f32 v179, v175, v193, -v182
	v_fmac_f32_e32 v180, v176, v193
	;; [unrolled: 2-line block ×3, first 2 shown]
	ds_write2_b64 v202, v[153:154], v[179:180] offset0:117 offset1:222
	ds_write_b64 v158, v[102:103] offset:10808
.LBB0_13:
	s_or_b64 exec, exec, s[4:5]
	s_waitcnt lgkmcnt(0)
	s_barrier
	ds_read2_b64 v[116:119], v155 offset1:105
	ds_read2_b64 v[108:111], v99 offset0:82 offset1:187
	ds_read2_b64 v[100:103], v101 offset0:36 offset1:141
	;; [unrolled: 1-line block ×5, first 2 shown]
	ds_read_b64 v[153:154], v155 offset:10080
	s_and_saveexec_b64 s[4:5], s[0:1]
	s_cbranch_execz .LBB0_15
; %bb.14:
	v_add_u32_e32 v12, 0x800, v158
	ds_read2_b64 v[80:83], v12 offset0:45 offset1:150
	v_add_u32_e32 v12, 0xc00, v158
	ds_read2_b64 v[84:87], v12 offset0:127 offset1:232
	;; [unrolled: 2-line block ×5, first 2 shown]
	ds_read2_b64 v[12:15], v12 offset0:117 offset1:222
	ds_read_b64 v[149:150], v158 offset:10808
.LBB0_15:
	s_or_b64 exec, exec, s[4:5]
	s_waitcnt lgkmcnt(6)
	v_add_f32_e32 v151, v116, v118
	v_add_f32_e32 v152, v117, v119
	s_waitcnt lgkmcnt(5)
	v_add_f32_e32 v151, v151, v108
	v_add_f32_e32 v152, v152, v109
	v_add_f32_e32 v151, v151, v110
	v_add_f32_e32 v152, v152, v111
	s_waitcnt lgkmcnt(4)
	v_add_f32_e32 v151, v151, v100
	v_add_f32_e32 v152, v152, v101
	;; [unrolled: 5-line block ×5, first 2 shown]
	v_add_f32_e32 v151, v151, v114
	s_waitcnt lgkmcnt(0)
	v_add_f32_e32 v166, v154, v119
	v_sub_f32_e32 v119, v119, v154
	v_add_f32_e32 v152, v152, v115
	v_add_f32_e32 v146, v151, v153
	;; [unrolled: 1-line block ×3, first 2 shown]
	v_sub_f32_e32 v118, v118, v153
	v_mul_f32_e32 v153, 0xbeedf032, v119
	v_mul_f32_e32 v169, 0xbf52af12, v119
	;; [unrolled: 1-line block ×6, first 2 shown]
	v_add_f32_e32 v147, v152, v154
	s_mov_b32 s5, 0x3f62ad3f
	v_mov_b32_e32 v154, v153
	s_mov_b32 s12, 0x3f116cb1
	v_mov_b32_e32 v170, v169
	;; [unrolled: 2-line block ×6, first 2 shown]
	v_fmac_f32_e32 v154, 0x3f62ad3f, v165
	v_mul_f32_e32 v167, 0x3f62ad3f, v166
	v_fma_f32 v153, v165, s5, -v153
	v_fmac_f32_e32 v170, 0x3f116cb1, v165
	v_mul_f32_e32 v171, 0x3f116cb1, v166
	v_fma_f32 v169, v165, s12, -v169
	;; [unrolled: 3-line block ×6, first 2 shown]
	v_add_f32_e32 v154, v116, v154
	v_mov_b32_e32 v168, v167
	v_add_f32_e32 v153, v116, v153
	v_add_f32_e32 v170, v116, v170
	v_mov_b32_e32 v172, v171
	v_add_f32_e32 v169, v116, v169
	v_add_f32_e32 v174, v116, v174
	v_mov_b32_e32 v176, v175
	v_add_f32_e32 v173, v116, v173
	v_add_f32_e32 v178, v116, v178
	v_mov_b32_e32 v180, v179
	v_add_f32_e32 v177, v116, v177
	v_add_f32_e32 v182, v116, v182
	v_mov_b32_e32 v184, v183
	v_add_f32_e32 v181, v116, v181
	v_add_f32_e32 v185, v116, v185
	v_mov_b32_e32 v186, v166
	v_add_f32_e32 v116, v116, v119
	v_add_f32_e32 v119, v115, v109
	v_sub_f32_e32 v109, v109, v115
	v_fmac_f32_e32 v168, 0x3eedf032, v118
	v_fmac_f32_e32 v167, 0xbeedf032, v118
	;; [unrolled: 1-line block ×12, first 2 shown]
	v_add_f32_e32 v118, v114, v108
	v_sub_f32_e32 v108, v108, v114
	v_mul_f32_e32 v114, 0xbf52af12, v109
	v_mov_b32_e32 v115, v114
	v_fmac_f32_e32 v115, 0x3f116cb1, v118
	v_add_f32_e32 v115, v115, v154
	v_mul_f32_e32 v154, 0x3f116cb1, v119
	v_add_f32_e32 v167, v117, v167
	v_mov_b32_e32 v165, v154
	v_fma_f32 v114, v118, s12, -v114
	v_fmac_f32_e32 v154, 0xbf52af12, v108
	v_add_f32_e32 v114, v114, v153
	v_add_f32_e32 v153, v154, v167
	v_mul_f32_e32 v154, 0xbf6f5d39, v109
	v_add_f32_e32 v168, v117, v168
	v_add_f32_e32 v172, v117, v172
	;; [unrolled: 1-line block ×11, first 2 shown]
	v_mov_b32_e32 v166, v154
	v_fma_f32 v154, v118, s13, -v154
	v_fmac_f32_e32 v165, 0x3f52af12, v108
	v_fmac_f32_e32 v166, 0xbeb58ec6, v118
	v_mul_f32_e32 v167, 0xbeb58ec6, v119
	v_add_f32_e32 v154, v154, v169
	v_mul_f32_e32 v169, 0xbe750f2a, v109
	v_add_f32_e32 v165, v165, v168
	v_add_f32_e32 v166, v166, v170
	v_mov_b32_e32 v168, v167
	v_fmac_f32_e32 v167, 0xbf6f5d39, v108
	v_mov_b32_e32 v170, v169
	v_fma_f32 v169, v118, s15, -v169
	v_fmac_f32_e32 v168, 0x3f6f5d39, v108
	v_add_f32_e32 v167, v167, v171
	v_fmac_f32_e32 v170, 0xbf788fa5, v118
	v_mul_f32_e32 v171, 0xbf788fa5, v119
	v_add_f32_e32 v169, v169, v173
	v_mul_f32_e32 v173, 0x3f29c268, v109
	v_add_f32_e32 v168, v168, v172
	v_add_f32_e32 v170, v170, v174
	v_mov_b32_e32 v172, v171
	v_fmac_f32_e32 v171, 0xbe750f2a, v108
	v_mov_b32_e32 v174, v173
	v_fma_f32 v173, v118, s14, -v173
	v_fmac_f32_e32 v172, 0x3e750f2a, v108
	v_add_f32_e32 v171, v171, v175
	v_fmac_f32_e32 v174, 0xbf3f9e67, v118
	v_mul_f32_e32 v175, 0xbf3f9e67, v119
	v_add_f32_e32 v173, v173, v177
	v_mul_f32_e32 v177, 0x3f7e222b, v109
	v_add_f32_e32 v172, v172, v176
	v_add_f32_e32 v174, v174, v178
	v_mov_b32_e32 v176, v175
	v_fmac_f32_e32 v175, 0x3f29c268, v108
	v_mov_b32_e32 v178, v177
	v_fmac_f32_e32 v176, 0xbf29c268, v108
	v_add_f32_e32 v175, v175, v179
	v_fmac_f32_e32 v178, 0x3df6dbef, v118
	v_mul_f32_e32 v179, 0x3df6dbef, v119
	v_mul_f32_e32 v119, 0x3f62ad3f, v119
	v_add_f32_e32 v176, v176, v180
	v_add_f32_e32 v178, v178, v182
	v_mov_b32_e32 v180, v179
	v_fma_f32 v177, v118, s4, -v177
	v_mul_f32_e32 v109, 0x3eedf032, v109
	v_mov_b32_e32 v182, v119
	v_fmac_f32_e32 v119, 0x3eedf032, v108
	v_fmac_f32_e32 v180, 0xbf7e222b, v108
	v_add_f32_e32 v177, v177, v181
	v_fmac_f32_e32 v179, 0x3f7e222b, v108
	v_mov_b32_e32 v181, v109
	v_fmac_f32_e32 v182, 0xbeedf032, v108
	v_fma_f32 v109, v118, s5, -v109
	v_add_f32_e32 v108, v119, v117
	v_add_f32_e32 v117, v113, v111
	v_sub_f32_e32 v111, v111, v113
	v_add_f32_e32 v109, v109, v116
	v_add_f32_e32 v116, v112, v110
	v_sub_f32_e32 v110, v110, v112
	v_mul_f32_e32 v112, 0xbf7e222b, v111
	v_mov_b32_e32 v113, v112
	v_fmac_f32_e32 v113, 0x3df6dbef, v116
	v_add_f32_e32 v113, v113, v115
	v_mul_f32_e32 v115, 0x3df6dbef, v117
	v_fmac_f32_e32 v181, 0x3f62ad3f, v118
	v_mov_b32_e32 v118, v115
	v_fma_f32 v112, v116, s4, -v112
	v_fmac_f32_e32 v115, 0xbf7e222b, v110
	v_add_f32_e32 v112, v112, v114
	v_add_f32_e32 v114, v115, v153
	v_mul_f32_e32 v115, 0xbe750f2a, v111
	v_mov_b32_e32 v119, v115
	v_fma_f32 v115, v116, s15, -v115
	v_fmac_f32_e32 v118, 0x3f7e222b, v110
	v_fmac_f32_e32 v119, 0xbf788fa5, v116
	v_mul_f32_e32 v153, 0xbf788fa5, v117
	v_add_f32_e32 v115, v115, v154
	v_mul_f32_e32 v154, 0x3f6f5d39, v111
	v_add_f32_e32 v118, v118, v165
	v_add_f32_e32 v119, v119, v166
	v_mov_b32_e32 v165, v153
	v_fmac_f32_e32 v153, 0xbe750f2a, v110
	v_mov_b32_e32 v166, v154
	v_fma_f32 v154, v116, s13, -v154
	v_fmac_f32_e32 v165, 0x3e750f2a, v110
	v_add_f32_e32 v153, v153, v167
	v_fmac_f32_e32 v166, 0xbeb58ec6, v116
	v_mul_f32_e32 v167, 0xbeb58ec6, v117
	v_add_f32_e32 v154, v154, v169
	v_mul_f32_e32 v169, 0x3eedf032, v111
	v_add_f32_e32 v165, v165, v168
	v_add_f32_e32 v166, v166, v170
	v_mov_b32_e32 v168, v167
	v_fmac_f32_e32 v167, 0x3f6f5d39, v110
	v_mov_b32_e32 v170, v169
	v_fma_f32 v169, v116, s5, -v169
	v_fmac_f32_e32 v168, 0xbf6f5d39, v110
	v_add_f32_e32 v167, v167, v171
	v_fmac_f32_e32 v170, 0x3f62ad3f, v116
	v_mul_f32_e32 v171, 0x3f62ad3f, v117
	v_add_f32_e32 v169, v169, v173
	v_mul_f32_e32 v173, 0xbf52af12, v111
	v_add_f32_e32 v168, v168, v172
	v_add_f32_e32 v170, v170, v174
	v_mov_b32_e32 v172, v171
	v_fmac_f32_e32 v171, 0x3eedf032, v110
	v_mov_b32_e32 v174, v173
	v_fma_f32 v173, v116, s12, -v173
	v_mul_f32_e32 v111, 0xbf29c268, v111
	v_fmac_f32_e32 v172, 0xbeedf032, v110
	v_add_f32_e32 v171, v171, v175
	v_fmac_f32_e32 v174, 0x3f116cb1, v116
	v_mul_f32_e32 v175, 0x3f116cb1, v117
	v_add_f32_e32 v173, v173, v177
	v_mov_b32_e32 v177, v111
	v_mul_f32_e32 v117, 0xbf3f9e67, v117
	v_fma_f32 v111, v116, s14, -v111
	v_add_f32_e32 v172, v172, v176
	v_add_f32_e32 v174, v174, v178
	v_mov_b32_e32 v176, v175
	v_mov_b32_e32 v178, v117
	v_add_f32_e32 v109, v111, v109
	v_add_f32_e32 v111, v107, v101
	v_sub_f32_e32 v101, v101, v107
	v_fmac_f32_e32 v176, 0x3f52af12, v110
	v_fmac_f32_e32 v175, 0xbf52af12, v110
	;; [unrolled: 1-line block ×4, first 2 shown]
	v_add_f32_e32 v110, v106, v100
	v_sub_f32_e32 v100, v100, v106
	v_mul_f32_e32 v106, 0xbf6f5d39, v101
	v_mov_b32_e32 v107, v106
	v_fmac_f32_e32 v107, 0xbeb58ec6, v110
	v_add_f32_e32 v107, v107, v113
	v_mul_f32_e32 v113, 0xbeb58ec6, v111
	v_fmac_f32_e32 v177, 0xbf3f9e67, v116
	v_mov_b32_e32 v116, v113
	v_fma_f32 v106, v110, s13, -v106
	v_fmac_f32_e32 v113, 0xbf6f5d39, v100
	v_add_f32_e32 v108, v117, v108
	v_fmac_f32_e32 v116, 0x3f6f5d39, v100
	v_add_f32_e32 v106, v106, v112
	v_add_f32_e32 v112, v113, v114
	v_mul_f32_e32 v113, 0x3f29c268, v101
	v_mul_f32_e32 v117, 0xbf3f9e67, v111
	v_add_f32_e32 v116, v116, v118
	v_mov_b32_e32 v114, v113
	v_mov_b32_e32 v118, v117
	v_fma_f32 v113, v110, s14, -v113
	v_fmac_f32_e32 v117, 0x3f29c268, v100
	v_fmac_f32_e32 v114, 0xbf3f9e67, v110
	v_add_f32_e32 v113, v113, v115
	v_add_f32_e32 v115, v117, v153
	v_mul_f32_e32 v117, 0x3eedf032, v101
	v_add_f32_e32 v114, v114, v119
	v_mov_b32_e32 v119, v117
	v_fma_f32 v117, v110, s5, -v117
	v_fmac_f32_e32 v118, 0xbf29c268, v100
	v_fmac_f32_e32 v119, 0x3f62ad3f, v110
	v_mul_f32_e32 v153, 0x3f62ad3f, v111
	v_add_f32_e32 v117, v117, v154
	v_mul_f32_e32 v154, 0xbf7e222b, v101
	v_add_f32_e32 v118, v118, v165
	v_add_f32_e32 v119, v119, v166
	v_mov_b32_e32 v165, v153
	v_fmac_f32_e32 v153, 0x3eedf032, v100
	v_mov_b32_e32 v166, v154
	v_fma_f32 v154, v110, s4, -v154
	v_fmac_f32_e32 v165, 0xbeedf032, v100
	v_add_f32_e32 v153, v153, v167
	v_fmac_f32_e32 v166, 0x3df6dbef, v110
	v_mul_f32_e32 v167, 0x3df6dbef, v111
	v_add_f32_e32 v154, v154, v169
	v_mul_f32_e32 v169, 0x3e750f2a, v101
	v_add_f32_e32 v165, v165, v168
	v_add_f32_e32 v166, v166, v170
	v_mov_b32_e32 v168, v167
	v_fmac_f32_e32 v167, 0xbf7e222b, v100
	v_mov_b32_e32 v170, v169
	v_fma_f32 v169, v110, s15, -v169
	v_mul_f32_e32 v101, 0x3f52af12, v101
	v_fmac_f32_e32 v168, 0x3f7e222b, v100
	v_add_f32_e32 v167, v167, v171
	v_fmac_f32_e32 v170, 0xbf788fa5, v110
	v_mul_f32_e32 v171, 0xbf788fa5, v111
	v_add_f32_e32 v169, v169, v173
	v_mov_b32_e32 v173, v101
	v_mul_f32_e32 v111, 0x3f116cb1, v111
	v_fma_f32 v101, v110, s12, -v101
	v_add_f32_e32 v168, v168, v172
	v_add_f32_e32 v170, v170, v174
	v_mov_b32_e32 v172, v171
	v_mov_b32_e32 v174, v111
	v_add_f32_e32 v101, v101, v109
	v_fmac_f32_e32 v111, 0x3f52af12, v100
	v_add_f32_e32 v109, v105, v103
	v_sub_f32_e32 v103, v103, v105
	v_fmac_f32_e32 v172, 0xbe750f2a, v100
	v_fmac_f32_e32 v171, 0x3e750f2a, v100
	;; [unrolled: 1-line block ×3, first 2 shown]
	v_add_f32_e32 v100, v111, v108
	v_add_f32_e32 v108, v104, v102
	v_sub_f32_e32 v102, v102, v104
	v_mul_f32_e32 v104, 0xbf29c268, v103
	v_mov_b32_e32 v105, v104
	v_fmac_f32_e32 v105, 0xbf3f9e67, v108
	v_add_f32_e32 v105, v105, v107
	v_mul_f32_e32 v107, 0xbf3f9e67, v109
	v_fmac_f32_e32 v173, 0x3f116cb1, v110
	v_mov_b32_e32 v110, v107
	v_fma_f32 v104, v108, s14, -v104
	v_fmac_f32_e32 v107, 0xbf29c268, v102
	v_add_f32_e32 v104, v104, v106
	v_add_f32_e32 v106, v107, v112
	v_mul_f32_e32 v107, 0x3f7e222b, v103
	v_mov_b32_e32 v111, v107
	v_fmac_f32_e32 v111, 0x3df6dbef, v108
	v_mul_f32_e32 v112, 0x3df6dbef, v109
	v_fma_f32 v107, v108, s4, -v107
	v_add_f32_e32 v111, v111, v114
	v_mov_b32_e32 v114, v112
	v_add_f32_e32 v107, v107, v113
	v_fmac_f32_e32 v112, 0x3f7e222b, v102
	v_mul_f32_e32 v113, 0xbf52af12, v103
	v_fmac_f32_e32 v110, 0x3f29c268, v102
	v_add_f32_e32 v112, v112, v115
	v_mov_b32_e32 v115, v113
	v_fma_f32 v113, v108, s12, -v113
	v_add_f32_e32 v110, v110, v116
	v_fmac_f32_e32 v114, 0xbf7e222b, v102
	v_fmac_f32_e32 v115, 0x3f116cb1, v108
	v_mul_f32_e32 v116, 0x3f116cb1, v109
	v_add_f32_e32 v113, v113, v117
	v_mul_f32_e32 v117, 0x3e750f2a, v103
	v_add_f32_e32 v114, v114, v118
	v_add_f32_e32 v115, v115, v119
	v_mov_b32_e32 v118, v116
	v_fmac_f32_e32 v116, 0xbf52af12, v102
	v_mov_b32_e32 v119, v117
	v_fma_f32 v117, v108, s15, -v117
	v_fmac_f32_e32 v118, 0x3f52af12, v102
	v_add_f32_e32 v116, v116, v153
	v_fmac_f32_e32 v119, 0xbf788fa5, v108
	v_mul_f32_e32 v153, 0xbf788fa5, v109
	v_add_f32_e32 v117, v117, v154
	v_mul_f32_e32 v154, 0x3eedf032, v103
	v_add_f32_e32 v118, v118, v165
	v_add_f32_e32 v119, v119, v166
	v_mov_b32_e32 v165, v153
	v_fmac_f32_e32 v153, 0x3e750f2a, v102
	v_mov_b32_e32 v166, v154
	v_fma_f32 v154, v108, s5, -v154
	v_mul_f32_e32 v103, 0xbf6f5d39, v103
	v_fmac_f32_e32 v165, 0xbe750f2a, v102
	v_add_f32_e32 v153, v153, v167
	v_fmac_f32_e32 v166, 0x3f62ad3f, v108
	v_mul_f32_e32 v167, 0x3f62ad3f, v109
	v_add_f32_e32 v154, v154, v169
	v_mov_b32_e32 v169, v103
	v_mul_f32_e32 v109, 0xbeb58ec6, v109
	v_fma_f32 v103, v108, s13, -v103
	v_add_f32_e32 v165, v165, v168
	v_add_f32_e32 v166, v166, v170
	v_mov_b32_e32 v168, v167
	v_mov_b32_e32 v170, v109
	v_add_f32_e32 v101, v103, v101
	v_add_f32_e32 v103, v99, v97
	v_sub_f32_e32 v97, v97, v99
	v_fmac_f32_e32 v168, 0xbeedf032, v102
	v_fmac_f32_e32 v167, 0x3eedf032, v102
	;; [unrolled: 1-line block ×4, first 2 shown]
	v_add_f32_e32 v102, v98, v96
	v_sub_f32_e32 v96, v96, v98
	v_mul_f32_e32 v98, 0xbe750f2a, v97
	v_mov_b32_e32 v99, v98
	v_fmac_f32_e32 v99, 0xbf788fa5, v102
	v_add_f32_e32 v225, v99, v105
	v_mul_f32_e32 v99, 0xbf788fa5, v103
	v_fma_f32 v98, v102, s15, -v98
	v_mov_b32_e32 v105, v99
	v_add_f32_e32 v227, v98, v104
	v_fmac_f32_e32 v99, 0xbe750f2a, v96
	v_mul_f32_e32 v98, 0x3eedf032, v97
	v_add_f32_e32 v228, v99, v106
	v_mov_b32_e32 v99, v98
	v_fmac_f32_e32 v99, 0x3f62ad3f, v102
	v_add_f32_e32 v229, v99, v111
	v_mul_f32_e32 v99, 0x3f62ad3f, v103
	v_fma_f32 v98, v102, s5, -v98
	v_mov_b32_e32 v104, v99
	v_add_f32_e32 v231, v98, v107
	v_fmac_f32_e32 v99, 0x3eedf032, v96
	v_mul_f32_e32 v98, 0xbf29c268, v97
	v_add_f32_e32 v232, v99, v112
	v_mov_b32_e32 v99, v98
	v_fmac_f32_e32 v99, 0xbf3f9e67, v102
	v_fmac_f32_e32 v104, 0xbeedf032, v96
	v_add_f32_e32 v233, v99, v115
	v_mul_f32_e32 v99, 0xbf3f9e67, v103
	v_fma_f32 v98, v102, s14, -v98
	v_add_f32_e32 v230, v104, v114
	v_mov_b32_e32 v104, v99
	v_add_f32_e32 v235, v98, v113
	v_fmac_f32_e32 v99, 0xbf29c268, v96
	v_mul_f32_e32 v98, 0x3f52af12, v97
	v_add_f32_e32 v236, v99, v116
	v_mov_b32_e32 v99, v98
	v_fmac_f32_e32 v99, 0x3f116cb1, v102
	v_fmac_f32_e32 v104, 0x3f29c268, v96
	v_add_f32_e32 v237, v99, v119
	v_mul_f32_e32 v99, 0x3f116cb1, v103
	v_fma_f32 v98, v102, s12, -v98
	v_add_f32_e32 v181, v181, v185
	v_add_f32_e32 v234, v104, v118
	v_mov_b32_e32 v104, v99
	v_add_f32_e32 v239, v98, v117
	v_fmac_f32_e32 v99, 0x3f52af12, v96
	v_mul_f32_e32 v98, 0xbf6f5d39, v97
	v_add_f32_e32 v179, v179, v183
	v_add_f32_e32 v177, v177, v181
	;; [unrolled: 1-line block ×3, first 2 shown]
	v_mov_b32_e32 v99, v98
	v_fma_f32 v98, v102, s13, -v98
	v_mul_f32_e32 v97, 0x3f7e222b, v97
	v_add_f32_e32 v175, v175, v179
	v_add_f32_e32 v173, v173, v177
	v_fmac_f32_e32 v169, 0xbeb58ec6, v108
	v_fmac_f32_e32 v99, 0xbeb58ec6, v102
	v_add_f32_e32 v243, v98, v154
	v_mov_b32_e32 v98, v97
	v_add_f32_e32 v171, v171, v175
	v_add_f32_e32 v169, v169, v173
	v_fmac_f32_e32 v104, 0xbf52af12, v96
	v_add_f32_e32 v241, v99, v166
	v_mul_f32_e32 v99, 0xbeb58ec6, v103
	v_fmac_f32_e32 v98, 0x3df6dbef, v102
	v_add_f32_e32 v167, v167, v171
	v_add_f32_e32 v238, v104, v165
	v_mov_b32_e32 v104, v99
	v_fmac_f32_e32 v99, 0xbf6f5d39, v96
	v_add_f32_e32 v245, v98, v169
	v_mul_f32_e32 v98, 0x3df6dbef, v103
	v_fma_f32 v97, v102, s4, -v97
	v_add_f32_e32 v244, v99, v167
	v_mov_b32_e32 v99, v98
	v_add_f32_e32 v247, v97, v101
	v_sub_f32_e32 v101, v95, v150
	v_add_f32_e32 v180, v180, v184
	v_fmac_f32_e32 v105, 0x3e750f2a, v96
	v_fmac_f32_e32 v104, 0x3f6f5d39, v96
	;; [unrolled: 1-line block ×4, first 2 shown]
	v_mul_f32_e32 v96, 0xbeedf032, v101
	v_add_f32_e32 v176, v176, v180
	v_add_f32_e32 v100, v109, v100
	;; [unrolled: 1-line block ×3, first 2 shown]
	v_mov_b32_e32 v97, v96
	v_add_f32_e32 v182, v182, v186
	v_add_f32_e32 v248, v98, v100
	v_sub_f32_e32 v100, v94, v149
	v_fmac_f32_e32 v97, 0x3f62ad3f, v180
	v_add_f32_e32 v178, v178, v182
	v_add_f32_e32 v181, v150, v95
	;; [unrolled: 1-line block ×3, first 2 shown]
	v_mul_f32_e32 v97, 0xbeedf032, v100
	v_add_f32_e32 v174, v174, v178
	v_fma_f32 v98, v181, s5, -v97
	v_add_f32_e32 v170, v170, v174
	v_add_f32_e32 v103, v93, v98
	v_mul_f32_e32 v98, 0xbf52af12, v101
	v_add_f32_e32 v172, v172, v176
	v_add_f32_e32 v246, v99, v170
	v_mov_b32_e32 v99, v98
	v_mul_f32_e32 v113, 0xbf788fa5, v181
	v_add_f32_e32 v168, v168, v172
	v_fmac_f32_e32 v99, 0x3f116cb1, v180
	v_mov_b32_e32 v114, v113
	v_fmac_f32_e32 v113, 0xbe750f2a, v100
	v_add_f32_e32 v242, v104, v168
	v_add_f32_e32 v104, v92, v99
	v_mul_f32_e32 v99, 0xbf52af12, v100
	v_mul_f32_e32 v115, 0xbf7e222b, v101
	v_mul_f32_e32 v117, 0xbf7e222b, v100
	v_mul_f32_e32 v152, 0xbf6f5d39, v100
	v_mul_f32_e32 v168, 0xbf29c268, v100
	v_fmac_f32_e32 v114, 0x3e750f2a, v100
	v_add_f32_e32 v100, v93, v113
	v_sub_f32_e32 v113, v80, v14
	v_sub_f32_e32 v167, v81, v15
	v_add_f32_e32 v226, v105, v110
	v_fma_f32 v105, v181, s12, -v99
	v_mov_b32_e32 v106, v115
	v_add_f32_e32 v191, v15, v81
	v_mul_f32_e32 v148, 0xbf6f5d39, v113
	v_mul_f32_e32 v175, 0xbe750f2a, v167
	v_add_f32_e32 v105, v93, v105
	v_fmac_f32_e32 v106, 0x3df6dbef, v180
	v_add_f32_e32 v190, v14, v80
	v_fma_f32 v166, v191, s13, -v148
	v_mov_b32_e32 v169, v175
	v_add_f32_e32 v106, v92, v106
	v_fma_f32 v107, v181, s4, -v117
	v_mul_f32_e32 v119, 0xbf6f5d39, v101
	v_add_f32_e32 v105, v166, v105
	v_fmac_f32_e32 v169, 0xbf788fa5, v190
	v_mul_f32_e32 v166, 0xbe750f2a, v113
	v_add_f32_e32 v107, v93, v107
	v_mov_b32_e32 v108, v119
	v_add_f32_e32 v106, v169, v106
	v_fma_f32 v170, v191, s15, -v166
	v_mul_f32_e32 v169, 0x3f29c268, v167
	v_fmac_f32_e32 v108, 0xbeb58ec6, v180
	v_add_f32_e32 v154, v93, v114
	v_mul_f32_e32 v114, 0xbf52af12, v167
	v_add_f32_e32 v107, v170, v107
	v_mov_b32_e32 v170, v169
	v_add_f32_e32 v108, v92, v108
	v_fma_f32 v109, v181, s13, -v152
	v_mul_f32_e32 v165, 0xbf29c268, v101
	v_mov_b32_e32 v116, v114
	v_fmac_f32_e32 v170, 0xbf3f9e67, v190
	v_mul_f32_e32 v171, 0x3f29c268, v113
	v_add_f32_e32 v109, v93, v109
	v_mov_b32_e32 v110, v165
	v_fmac_f32_e32 v116, 0x3f116cb1, v190
	v_add_f32_e32 v108, v170, v108
	v_fma_f32 v170, v191, s14, -v171
	v_mul_f32_e32 v178, 0x3f7e222b, v167
	v_fmac_f32_e32 v110, 0xbf3f9e67, v180
	v_add_f32_e32 v102, v116, v102
	v_mul_f32_e32 v116, 0xbf52af12, v113
	v_add_f32_e32 v109, v170, v109
	v_mov_b32_e32 v170, v178
	v_add_f32_e32 v110, v92, v110
	v_fma_f32 v111, v181, s14, -v168
	v_mul_f32_e32 v101, 0xbe750f2a, v101
	v_fma_f32 v118, v191, s12, -v116
	v_fmac_f32_e32 v170, 0x3df6dbef, v190
	v_mul_f32_e32 v183, 0x3f7e222b, v113
	v_add_f32_e32 v111, v93, v111
	v_mov_b32_e32 v112, v101
	v_add_f32_e32 v103, v118, v103
	v_mul_f32_e32 v118, 0xbf6f5d39, v167
	v_add_f32_e32 v110, v170, v110
	v_fma_f32 v170, v191, s4, -v183
	v_mul_f32_e32 v167, 0x3eedf032, v167
	v_fmac_f32_e32 v112, 0xbf788fa5, v180
	v_add_f32_e32 v111, v170, v111
	v_mov_b32_e32 v170, v167
	v_add_f32_e32 v112, v92, v112
	v_fmac_f32_e32 v170, 0x3f62ad3f, v190
	v_add_f32_e32 v112, v170, v112
	v_mul_f32_e32 v170, 0x3f62ad3f, v191
	v_mov_b32_e32 v173, v170
	v_fma_f32 v101, v180, s15, -v101
	v_fmac_f32_e32 v173, 0xbeedf032, v113
	v_add_f32_e32 v101, v92, v101
	v_add_f32_e32 v174, v173, v154
	v_fma_f32 v154, v190, s5, -v167
	v_fmac_f32_e32 v170, 0x3eedf032, v113
	v_sub_f32_e32 v113, v82, v12
	v_add_f32_e32 v101, v154, v101
	v_add_f32_e32 v202, v13, v83
	v_mul_f32_e32 v154, 0xbf7e222b, v113
	v_add_f32_e32 v100, v170, v100
	v_fma_f32 v170, v202, s4, -v154
	v_add_f32_e32 v103, v170, v103
	v_mul_f32_e32 v170, 0xbe750f2a, v113
	v_sub_f32_e32 v177, v83, v13
	v_fma_f32 v176, v202, s15, -v170
	v_add_f32_e32 v105, v176, v105
	v_mul_f32_e32 v176, 0x3f6f5d39, v177
	v_add_f32_e32 v201, v12, v82
	v_mov_b32_e32 v179, v176
	v_fmac_f32_e32 v179, 0xbeb58ec6, v201
	v_add_f32_e32 v106, v179, v106
	v_mul_f32_e32 v179, 0x3f6f5d39, v113
	v_fma_f32 v182, v202, s13, -v179
	v_mul_f32_e32 v184, 0x3eedf032, v177
	v_add_f32_e32 v107, v182, v107
	v_mov_b32_e32 v182, v184
	v_fmac_f32_e32 v182, 0x3f62ad3f, v201
	v_mul_f32_e32 v187, 0x3eedf032, v113
	v_mul_f32_e32 v151, 0xbf7e222b, v177
	v_add_f32_e32 v108, v182, v108
	v_fma_f32 v182, v202, s5, -v187
	v_mul_f32_e32 v192, 0xbf52af12, v177
	v_mov_b32_e32 v167, v151
	v_add_f32_e32 v109, v182, v109
	v_mov_b32_e32 v182, v192
	v_fmac_f32_e32 v167, 0x3df6dbef, v201
	v_fmac_f32_e32 v182, 0x3f116cb1, v201
	v_mul_f32_e32 v195, 0xbf52af12, v113
	v_add_f32_e32 v102, v167, v102
	v_mul_f32_e32 v167, 0xbe750f2a, v177
	v_add_f32_e32 v110, v182, v110
	v_fma_f32 v182, v202, s12, -v195
	v_mul_f32_e32 v177, 0xbf29c268, v177
	v_add_f32_e32 v111, v182, v111
	v_mov_b32_e32 v182, v177
	v_fmac_f32_e32 v182, 0xbf3f9e67, v201
	v_add_f32_e32 v112, v182, v112
	v_mul_f32_e32 v182, 0xbf3f9e67, v202
	v_mov_b32_e32 v185, v182
	v_fmac_f32_e32 v185, 0x3f29c268, v113
	v_fmac_f32_e32 v182, 0xbf29c268, v113
	v_sub_f32_e32 v113, v84, v18
	v_add_f32_e32 v211, v19, v85
	v_mul_f32_e32 v172, 0xbf6f5d39, v113
	v_mov_b32_e32 v153, v118
	v_add_f32_e32 v100, v182, v100
	v_sub_f32_e32 v189, v85, v19
	v_fma_f32 v182, v211, s13, -v172
	v_fmac_f32_e32 v153, 0xbeb58ec6, v190
	v_mov_b32_e32 v173, v167
	v_add_f32_e32 v103, v182, v103
	v_mul_f32_e32 v182, 0x3f29c268, v189
	v_add_f32_e32 v104, v153, v104
	v_fmac_f32_e32 v173, 0xbf788fa5, v201
	v_add_f32_e32 v186, v185, v174
	v_add_f32_e32 v210, v18, v84
	v_mov_b32_e32 v185, v182
	v_add_f32_e32 v104, v173, v104
	v_fmac_f32_e32 v185, 0xbf3f9e67, v210
	v_add_f32_e32 v104, v185, v104
	v_mul_f32_e32 v185, 0x3f29c268, v113
	v_fma_f32 v188, v211, s14, -v185
	v_add_f32_e32 v105, v188, v105
	v_mul_f32_e32 v188, 0x3eedf032, v189
	v_mov_b32_e32 v193, v188
	v_fmac_f32_e32 v193, 0x3f62ad3f, v210
	v_add_f32_e32 v106, v193, v106
	v_mul_f32_e32 v193, 0x3eedf032, v113
	v_fma_f32 v194, v211, s5, -v193
	v_mul_f32_e32 v196, 0xbf7e222b, v189
	v_add_f32_e32 v107, v194, v107
	v_mov_b32_e32 v194, v196
	v_fmac_f32_e32 v194, 0x3df6dbef, v210
	v_mul_f32_e32 v199, 0xbf7e222b, v113
	v_add_f32_e32 v108, v194, v108
	v_fma_f32 v194, v211, s4, -v199
	v_mul_f32_e32 v204, 0x3e750f2a, v189
	v_add_f32_e32 v109, v194, v109
	v_mov_b32_e32 v194, v204
	v_fmac_f32_e32 v194, 0xbf788fa5, v210
	v_mul_f32_e32 v207, 0x3e750f2a, v113
	v_mul_f32_e32 v173, 0xbf6f5d39, v189
	v_add_f32_e32 v110, v194, v110
	v_fma_f32 v194, v211, s15, -v207
	v_mul_f32_e32 v189, 0x3f52af12, v189
	v_add_f32_e32 v111, v194, v111
	v_mov_b32_e32 v194, v189
	v_fmac_f32_e32 v194, 0x3f116cb1, v210
	v_add_f32_e32 v112, v194, v112
	v_mul_f32_e32 v194, 0x3f116cb1, v211
	v_mov_b32_e32 v197, v194
	v_fma_f32 v174, v201, s14, -v177
	v_fmac_f32_e32 v197, 0xbf52af12, v113
	v_add_f32_e32 v101, v174, v101
	v_add_f32_e32 v198, v197, v186
	v_fma_f32 v186, v210, s12, -v189
	v_sub_f32_e32 v203, v87, v17
	v_mov_b32_e32 v177, v173
	v_add_f32_e32 v101, v186, v101
	v_mul_f32_e32 v186, 0xbf29c268, v203
	v_fmac_f32_e32 v177, 0xbeb58ec6, v210
	v_add_f32_e32 v218, v16, v86
	v_mov_b32_e32 v189, v186
	v_add_f32_e32 v102, v177, v102
	v_fmac_f32_e32 v194, 0x3f52af12, v113
	v_sub_f32_e32 v113, v86, v16
	v_fmac_f32_e32 v189, 0xbf3f9e67, v218
	v_add_f32_e32 v219, v17, v87
	v_add_f32_e32 v102, v189, v102
	v_mul_f32_e32 v189, 0xbf29c268, v113
	v_add_f32_e32 v100, v194, v100
	v_fma_f32 v194, v219, s14, -v189
	v_add_f32_e32 v103, v194, v103
	v_mul_f32_e32 v194, 0x3f7e222b, v203
	v_mov_b32_e32 v197, v194
	v_fmac_f32_e32 v197, 0x3df6dbef, v218
	v_add_f32_e32 v104, v197, v104
	v_mul_f32_e32 v197, 0x3f7e222b, v113
	v_fma_f32 v200, v219, s4, -v197
	v_add_f32_e32 v105, v200, v105
	v_mul_f32_e32 v200, 0xbf52af12, v203
	v_mov_b32_e32 v205, v200
	v_fmac_f32_e32 v205, 0x3f116cb1, v218
	v_add_f32_e32 v106, v205, v106
	v_mul_f32_e32 v205, 0xbf52af12, v113
	v_fma_f32 v206, v219, s12, -v205
	v_mul_f32_e32 v208, 0x3e750f2a, v203
	v_add_f32_e32 v107, v206, v107
	v_mov_b32_e32 v206, v208
	v_fmac_f32_e32 v206, 0xbf788fa5, v218
	v_mul_f32_e32 v212, 0x3e750f2a, v113
	v_add_f32_e32 v108, v206, v108
	v_fma_f32 v206, v219, s15, -v212
	v_mul_f32_e32 v214, 0x3eedf032, v203
	v_add_f32_e32 v109, v206, v109
	v_mov_b32_e32 v206, v214
	v_fmac_f32_e32 v206, 0x3f62ad3f, v218
	v_mul_f32_e32 v216, 0x3eedf032, v113
	v_add_f32_e32 v110, v206, v110
	v_fma_f32 v206, v219, s5, -v216
	v_mul_f32_e32 v203, 0xbf6f5d39, v203
	v_add_f32_e32 v111, v206, v111
	v_mov_b32_e32 v206, v203
	v_fmac_f32_e32 v206, 0xbeb58ec6, v218
	v_add_f32_e32 v112, v206, v112
	v_mul_f32_e32 v206, 0xbeb58ec6, v219
	v_mov_b32_e32 v209, v206
	v_fmac_f32_e32 v209, 0x3f6f5d39, v113
	v_add_f32_e32 v249, v209, v198
	v_fma_f32 v198, v218, s13, -v203
	v_sub_f32_e32 v252, v89, v91
	v_add_f32_e32 v250, v198, v101
	v_fmac_f32_e32 v206, 0xbf6f5d39, v113
	v_mul_f32_e32 v198, 0xbe750f2a, v252
	v_add_f32_e32 v113, v206, v100
	v_add_f32_e32 v223, v90, v88
	v_mov_b32_e32 v100, v198
	v_fmac_f32_e32 v100, 0xbf788fa5, v223
	v_mul_f32_e32 v206, 0x3eedf032, v252
	v_sub_f32_e32 v251, v88, v90
	v_add_f32_e32 v100, v100, v102
	v_mov_b32_e32 v102, v206
	v_add_f32_e32 v224, v91, v89
	v_fmac_f32_e32 v102, 0x3f62ad3f, v223
	v_mul_f32_e32 v209, 0x3eedf032, v251
	v_add_f32_e32 v104, v102, v104
	v_fma_f32 v102, v224, s5, -v209
	v_mul_f32_e32 v213, 0xbf29c268, v252
	v_add_f32_e32 v105, v102, v105
	v_mov_b32_e32 v102, v213
	v_fmac_f32_e32 v102, 0xbf3f9e67, v223
	v_mul_f32_e32 v217, 0x3f52af12, v252
	v_add_f32_e32 v102, v102, v106
	v_mov_b32_e32 v106, v217
	v_fmac_f32_e32 v106, 0x3f116cb1, v223
	v_mul_f32_e32 v221, 0xbf6f5d39, v252
	v_mul_f32_e32 v203, 0xbe750f2a, v251
	v_add_f32_e32 v106, v106, v108
	v_mov_b32_e32 v108, v221
	v_fma_f32 v101, v224, s15, -v203
	v_mul_f32_e32 v215, 0xbf29c268, v251
	v_fmac_f32_e32 v108, 0xbeb58ec6, v223
	v_mul_f32_e32 v222, 0xbf6f5d39, v251
	v_add_f32_e32 v101, v101, v103
	v_fma_f32 v103, v224, s14, -v215
	v_mul_f32_e32 v220, 0x3f52af12, v251
	v_add_f32_e32 v110, v108, v110
	v_fma_f32 v108, v224, s13, -v222
	;; [unrolled: 3-line block ×3, first 2 shown]
	v_add_f32_e32 v111, v108, v111
	v_mov_b32_e32 v108, v252
	v_mul_f32_e32 v253, 0x3df6dbef, v224
	v_add_f32_e32 v107, v107, v109
	v_fmac_f32_e32 v108, 0x3df6dbef, v223
	v_mov_b32_e32 v109, v253
	v_add_f32_e32 v108, v108, v112
	v_fmac_f32_e32 v109, 0xbf7e222b, v251
	v_fma_f32 v112, v223, s4, -v252
	v_fmac_f32_e32 v253, 0x3f7e222b, v251
	v_add_f32_e32 v109, v109, v249
	v_add_f32_e32 v112, v112, v250
	;; [unrolled: 1-line block ×3, first 2 shown]
	s_barrier
	ds_write2_b64 v254, v[146:147], v[225:226] offset1:1
	ds_write2_b64 v254, v[229:230], v[233:234] offset0:2 offset1:3
	ds_write2_b64 v254, v[237:238], v[241:242] offset0:4 offset1:5
	;; [unrolled: 1-line block ×5, first 2 shown]
	ds_write_b64 v254, v[227:228] offset:96
	s_and_saveexec_b64 s[4:5], s[0:1]
	s_cbranch_execz .LBB0_17
; %bb.16:
	v_add_f32_e32 v95, v95, v93
	v_add_f32_e32 v81, v81, v95
	;; [unrolled: 1-line block ×13, first 2 shown]
	v_mul_f32_e32 v146, 0x3f62ad3f, v180
	v_add_f32_e32 v15, v82, v15
	buffer_store_dword v146, off, s[20:23], 0 offset:8 ; 4-byte Folded Spill
	v_mul_f32_e32 v146, 0x3f62ad3f, v181
	v_add_f32_e32 v15, v84, v15
	buffer_store_dword v146, off, s[20:23], 0 offset:16 ; 4-byte Folded Spill
	;; [unrolled: 3-line block ×6, first 2 shown]
	v_mul_f32_e32 v146, 0xbeb58ec6, v190
	v_add_f32_e32 v15, v18, v15
	v_mul_f32_e32 v227, 0x3df6dbef, v181
	v_mul_f32_e32 v229, 0xbeb58ec6, v181
	;; [unrolled: 1-line block ×3, first 2 shown]
	buffer_store_dword v146, off, s[20:23], 0 offset:44 ; 4-byte Folded Spill
	v_mul_f32_e32 v146, 0x3df6dbef, v201
	v_add_f32_e32 v12, v12, v15
	v_mul_f32_e32 v233, 0xbeb58ec6, v191
	v_mul_f32_e32 v235, 0xbf788fa5, v191
	;; [unrolled: 1-line block ×4, first 2 shown]
	buffer_store_dword v146, off, s[20:23], 0 offset:20 ; 4-byte Folded Spill
	v_mul_f32_e32 v146, 0x3df6dbef, v202
	v_add_f32_e32 v12, v14, v12
	v_add_f32_e32 v14, v168, v181
	buffer_store_dword v146, off, s[20:23], 0 offset:36 ; 4-byte Folded Spill
	v_mul_f32_e32 v241, 0xbf788fa5, v202
	v_mul_f32_e32 v243, 0xbeb58ec6, v202
	v_mul_f32_e32 v245, 0x3f62ad3f, v202
	v_mul_f32_e32 v202, 0x3f116cb1, v202
	v_mul_f32_e32 v146, 0xbeb58ec6, v210
	v_add_f32_e32 v14, v93, v14
	v_add_f32_e32 v15, v183, v191
	buffer_store_dword v146, off, s[20:23], 0 offset:28 ; 4-byte Folded Spill
	v_mul_f32_e32 v146, 0xbeb58ec6, v211
	v_mul_f32_e32 v249, 0xbf3f9e67, v211
	;; [unrolled: 1-line block ×5, first 2 shown]
	v_add_f32_e32 v14, v15, v14
	v_add_f32_e32 v15, v195, v202
	buffer_store_dword v146, off, s[20:23], 0 offset:48 ; 4-byte Folded Spill
	v_mul_f32_e32 v146, 0xbf3f9e67, v218
	v_mul_f32_e32 v239, 0xbf3f9e67, v219
	v_mov_b32_e32 v226, v172
	v_mul_f32_e32 v172, 0x3df6dbef, v219
	v_mul_f32_e32 v147, 0x3f116cb1, v219
	v_mov_b32_e32 v153, v162
	v_mul_f32_e32 v162, 0xbf788fa5, v219
	v_mul_f32_e32 v219, 0x3f62ad3f, v219
	v_add_f32_e32 v14, v15, v14
	v_add_f32_e32 v15, v207, v211
	buffer_store_dword v146, off, s[20:23], 0 offset:40 ; 4-byte Folded Spill
	v_mul_f32_e32 v238, 0xbf788fa5, v224
	v_mul_f32_e32 v163, 0x3f62ad3f, v224
	v_mov_b32_e32 v177, v98
	v_mul_f32_e32 v98, 0xbf3f9e67, v224
	v_mul_f32_e32 v146, 0x3f116cb1, v224
	v_mul_f32_e32 v224, 0xbeb58ec6, v224
	v_add_f32_e32 v14, v15, v14
	v_add_f32_e32 v15, v216, v219
	v_mul_f32_e32 v230, 0x3df6dbef, v180
	v_mul_f32_e32 v228, 0xbeb58ec6, v180
	;; [unrolled: 1-line block ×3, first 2 shown]
	v_add_f32_e32 v14, v15, v14
	v_add_f32_e32 v15, v222, v224
	v_mul_f32_e32 v234, 0xbf788fa5, v190
	v_mul_f32_e32 v236, 0xbf3f9e67, v190
	;; [unrolled: 1-line block ×3, first 2 shown]
	v_add_f32_e32 v15, v15, v14
	v_sub_f32_e32 v14, v180, v165
	v_mul_f32_e32 v246, 0xbf788fa5, v201
	v_mul_f32_e32 v242, 0xbeb58ec6, v201
	;; [unrolled: 1-line block ×4, first 2 shown]
	v_add_f32_e32 v14, v92, v14
	v_sub_f32_e32 v16, v190, v178
	v_mul_f32_e32 v248, 0xbf3f9e67, v210
	v_mul_f32_e32 v250, 0x3f62ad3f, v210
	;; [unrolled: 1-line block ×4, first 2 shown]
	v_add_f32_e32 v14, v16, v14
	v_sub_f32_e32 v16, v201, v192
	v_mov_b32_e32 v231, v161
	v_mov_b32_e32 v161, v116
	v_mul_f32_e32 v116, 0x3df6dbef, v218
	v_mov_b32_e32 v240, v151
	v_mul_f32_e32 v151, 0x3f116cb1, v218
	;; [unrolled: 2-line block ×3, first 2 shown]
	v_mul_f32_e32 v218, 0x3f62ad3f, v218
	v_add_f32_e32 v14, v16, v14
	v_sub_f32_e32 v16, v210, v204
	v_mul_f32_e32 v247, 0xbf788fa5, v223
	v_mov_b32_e32 v225, v96
	v_mul_f32_e32 v96, 0x3f62ad3f, v223
	v_mov_b32_e32 v254, v97
	;; [unrolled: 2-line block ×3, first 2 shown]
	v_mov_b32_e32 v167, v99
	v_mul_f32_e32 v99, 0x3f116cb1, v223
	v_mul_f32_e32 v223, 0xbeb58ec6, v223
	v_add_f32_e32 v14, v16, v14
	v_sub_f32_e32 v16, v218, v214
	v_add_f32_e32 v14, v16, v14
	v_sub_f32_e32 v16, v223, v221
	v_add_f32_e32 v14, v16, v14
	v_add_f32_e32 v16, v152, v229
	v_add_f32_e32 v16, v93, v16
	v_add_f32_e32 v17, v171, v237
	v_add_f32_e32 v16, v17, v16
	v_add_f32_e32 v17, v187, v245
	v_add_f32_e32 v16, v17, v16
	v_add_f32_e32 v17, v199, v253
	v_add_f32_e32 v16, v17, v16
	v_add_f32_e32 v17, v212, v162
	v_add_f32_e32 v16, v17, v16
	v_add_f32_e32 v17, v220, v146
	v_add_f32_e32 v17, v17, v16
	v_sub_f32_e32 v16, v228, v119
	v_add_f32_e32 v16, v92, v16
	v_sub_f32_e32 v18, v236, v169
	v_add_f32_e32 v16, v18, v16
	v_sub_f32_e32 v18, v244, v184
	v_add_f32_e32 v16, v18, v16
	v_sub_f32_e32 v18, v252, v196
	v_add_f32_e32 v16, v18, v16
	v_sub_f32_e32 v18, v114, v208
	v_add_f32_e32 v16, v18, v16
	v_sub_f32_e32 v18, v99, v217
	v_add_f32_e32 v16, v18, v16
	v_add_f32_e32 v18, v117, v227
	v_add_f32_e32 v18, v93, v18
	;; [unrolled: 1-line block ×12, first 2 shown]
	v_sub_f32_e32 v18, v230, v115
	v_add_f32_e32 v18, v92, v18
	v_sub_f32_e32 v80, v234, v175
	v_add_f32_e32 v18, v80, v18
	;; [unrolled: 2-line block ×6, first 2 shown]
	buffer_load_dword v80, off, s[20:23], 0 offset:52 ; 4-byte Folded Reload
	v_add_f32_e32 v81, v148, v233
	buffer_load_dword v82, off, s[20:23], 0 offset:44 ; 4-byte Folded Reload
	v_add_f32_e32 v13, v150, v13
	v_add_f32_e32 v12, v149, v12
	v_mov_b32_e32 v162, v153
	buffer_load_dword v83, off, s[20:23], 0 offset:24 ; 4-byte Folded Reload
	buffer_load_dword v84, off, s[20:23], 0 offset:12 ; 4-byte Folded Reload
	s_waitcnt vmcnt(3)
	v_add_f32_e32 v80, v167, v80
	v_add_f32_e32 v80, v93, v80
	;; [unrolled: 1-line block ×11, first 2 shown]
	buffer_load_dword v80, off, s[20:23], 0 offset:32 ; 4-byte Folded Reload
	s_waitcnt vmcnt(3)
	v_sub_f32_e32 v82, v82, v118
	s_waitcnt vmcnt(2)
	v_add_f32_e32 v83, v161, v83
	v_mov_b32_e32 v161, v231
	s_waitcnt vmcnt(1)
	v_sub_f32_e32 v84, v84, v232
	s_waitcnt vmcnt(0)
	v_sub_f32_e32 v80, v80, v177
	v_add_f32_e32 v80, v92, v80
	v_add_f32_e32 v80, v82, v80
	v_sub_f32_e32 v82, v246, v174
	v_add_f32_e32 v80, v82, v80
	v_sub_f32_e32 v82, v248, v182
	;; [unrolled: 2-line block ×4, first 2 shown]
	v_add_f32_e32 v80, v82, v80
	buffer_load_dword v82, off, s[20:23], 0 offset:16 ; 4-byte Folded Reload
	s_waitcnt vmcnt(0)
	v_add_f32_e32 v82, v254, v82
	v_add_f32_e32 v82, v93, v82
	;; [unrolled: 1-line block ×3, first 2 shown]
	buffer_load_dword v83, off, s[20:23], 0 offset:36 ; 4-byte Folded Reload
	s_waitcnt vmcnt(0)
	v_add_f32_e32 v83, v154, v83
	v_add_f32_e32 v82, v83, v82
	buffer_load_dword v83, off, s[20:23], 0 offset:48 ; 4-byte Folded Reload
	s_waitcnt vmcnt(0)
	v_add_f32_e32 v83, v226, v83
	v_add_f32_e32 v82, v83, v82
	;; [unrolled: 1-line block ×6, first 2 shown]
	buffer_load_dword v82, off, s[20:23], 0 offset:8 ; 4-byte Folded Reload
	s_waitcnt vmcnt(0)
	v_sub_f32_e32 v82, v82, v225
	v_add_f32_e32 v82, v92, v82
	v_add_f32_e32 v82, v84, v82
	buffer_load_dword v84, off, s[20:23], 0 offset:20 ; 4-byte Folded Reload
	s_waitcnt vmcnt(0)
	v_sub_f32_e32 v84, v84, v240
	v_add_f32_e32 v82, v84, v82
	buffer_load_dword v84, off, s[20:23], 0 offset:28 ; 4-byte Folded Reload
	s_waitcnt vmcnt(0)
	v_sub_f32_e32 v84, v84, v173
	;; [unrolled: 4-line block ×3, first 2 shown]
	v_add_f32_e32 v82, v84, v82
	v_sub_f32_e32 v84, v247, v198
	v_add_f32_e32 v82, v84, v82
	buffer_load_dword v84, off, s[20:23], 0 offset:4 ; 4-byte Folded Reload
	buffer_load_dword v85, off, s[20:23], 0 ; 4-byte Folded Reload
	s_waitcnt vmcnt(0)
	v_lshl_add_u32 v84, v84, 3, v85
	ds_write2_b64 v84, v[12:13], v[100:101] offset1:1
	ds_write2_b64 v84, v[104:105], v[102:103] offset0:2 offset1:3
	ds_write2_b64 v84, v[106:107], v[110:111] offset0:4 offset1:5
	;; [unrolled: 1-line block ×5, first 2 shown]
	ds_write_b64 v84, v[82:83] offset:96
.LBB0_17:
	s_or_b64 exec, exec, s[4:5]
	v_add_u32_e32 v16, 0x800, v155
	s_waitcnt lgkmcnt(0)
	s_barrier
	ds_read2_b64 v[92:95], v16 offset0:134 offset1:225
	v_add_u32_e32 v16, 0x1800, v155
	ds_read2_b64 v[84:87], v16 offset0:12 offset1:103
	v_add_u32_e32 v16, 0x1c00, v155
	v_add_u32_e32 v114, 0x400, v155
	;; [unrolled: 1-line block ×3, first 2 shown]
	ds_read2_b64 v[80:83], v16 offset0:79 offset1:170
	v_add_u32_e32 v16, 0x2000, v155
	ds_read2_b64 v[12:15], v155 offset1:91
	ds_read2_b64 v[96:99], v114 offset0:67 offset1:158
	ds_read2_b64 v[88:91], v115 offset0:73 offset1:164
	;; [unrolled: 1-line block ×3, first 2 shown]
	s_and_saveexec_b64 s[4:5], s[2:3]
	s_cbranch_execz .LBB0_19
; %bb.18:
	v_add_u32_e32 v100, 0x1e00, v155
	ds_read2_b64 v[100:103], v100 offset0:2 offset1:197
	ds_read2_b64 v[116:119], v114 offset0:54 offset1:249
	;; [unrolled: 1-line block ×3, first 2 shown]
	ds_read_b64 v[112:113], v155 offset:10816
	s_waitcnt lgkmcnt(3)
	v_mov_b32_e32 v108, v102
	v_mov_b32_e32 v109, v103
	;; [unrolled: 1-line block ×4, first 2 shown]
	s_waitcnt lgkmcnt(1)
	v_mov_b32_e32 v102, v104
	v_mov_b32_e32 v103, v105
	;; [unrolled: 1-line block ×6, first 2 shown]
.LBB0_19:
	s_or_b64 exec, exec, s[4:5]
	s_waitcnt lgkmcnt(2)
	v_mul_f32_e32 v117, v29, v97
	v_mul_f32_e32 v29, v29, v96
	v_fmac_f32_e32 v117, v28, v96
	v_fma_f32 v28, v28, v97, -v29
	v_mul_f32_e32 v29, v31, v93
	v_mul_f32_e32 v31, v31, v92
	v_fmac_f32_e32 v29, v30, v92
	v_fma_f32 v30, v30, v93, -v31
	s_waitcnt lgkmcnt(1)
	v_mul_f32_e32 v31, v21, v89
	v_mul_f32_e32 v21, v21, v88
	v_fmac_f32_e32 v31, v20, v88
	v_fma_f32 v20, v20, v89, -v21
	v_mul_f32_e32 v21, v23, v85
	v_mul_f32_e32 v23, v23, v84
	v_fmac_f32_e32 v21, v22, v84
	v_fma_f32 v22, v22, v85, -v23
	;; [unrolled: 4-line block ×3, first 2 shown]
	s_waitcnt lgkmcnt(0)
	v_mul_f32_e32 v41, v43, v17
	v_fmac_f32_e32 v41, v42, v16
	v_mul_f32_e32 v16, v43, v16
	v_fma_f32 v16, v42, v17, -v16
	v_mul_f32_e32 v42, v37, v99
	v_mul_f32_e32 v17, v37, v98
	v_fmac_f32_e32 v42, v36, v98
	v_fma_f32 v36, v36, v99, -v17
	v_mul_f32_e32 v37, v39, v95
	v_mul_f32_e32 v17, v39, v94
	v_fmac_f32_e32 v37, v38, v94
	;; [unrolled: 4-line block ×4, first 2 shown]
	v_fma_f32 v34, v34, v87, -v17
	v_mul_f32_e32 v17, v25, v82
	v_mul_f32_e32 v35, v25, v83
	v_fma_f32 v43, v24, v83, -v17
	v_mul_f32_e32 v17, v27, v18
	v_fmac_f32_e32 v35, v24, v82
	v_mul_f32_e32 v80, v27, v19
	v_fma_f32 v81, v26, v19, -v17
	v_add_f32_e32 v17, v117, v41
	v_add_f32_e32 v24, v29, v23
	v_fmac_f32_e32 v80, v26, v18
	v_add_f32_e32 v18, v28, v16
	v_sub_f32_e32 v16, v28, v16
	v_add_f32_e32 v25, v30, v40
	v_add_f32_e32 v27, v31, v21
	;; [unrolled: 1-line block ×3, first 2 shown]
	v_sub_f32_e32 v20, v22, v20
	v_add_f32_e32 v22, v24, v17
	v_sub_f32_e32 v23, v29, v23
	v_add_f32_e32 v29, v25, v18
	v_add_f32_e32 v22, v27, v22
	v_sub_f32_e32 v19, v117, v41
	v_sub_f32_e32 v26, v30, v40
	;; [unrolled: 1-line block ×6, first 2 shown]
	v_add_f32_e32 v27, v28, v29
	v_add_f32_e32 v12, v12, v22
	v_sub_f32_e32 v31, v25, v18
	v_sub_f32_e32 v18, v18, v28
	;; [unrolled: 1-line block ×3, first 2 shown]
	v_add_f32_e32 v40, v21, v23
	v_add_f32_e32 v41, v20, v26
	v_sub_f32_e32 v82, v21, v23
	v_sub_f32_e32 v83, v20, v26
	;; [unrolled: 1-line block ×4, first 2 shown]
	v_add_f32_e32 v13, v13, v27
	v_mov_b32_e32 v84, v12
	v_sub_f32_e32 v21, v19, v21
	v_sub_f32_e32 v20, v16, v20
	v_add_f32_e32 v19, v40, v19
	v_add_f32_e32 v16, v41, v16
	v_mul_f32_e32 v17, 0x3f4a47b2, v17
	v_mul_f32_e32 v18, 0x3f4a47b2, v18
	;; [unrolled: 1-line block ×6, first 2 shown]
	s_mov_b32 s12, 0xbf5ff5aa
	v_mul_f32_e32 v82, 0xbf5ff5aa, v23
	v_mul_f32_e32 v83, 0xbf5ff5aa, v26
	v_fmac_f32_e32 v84, 0xbf955555, v22
	v_mov_b32_e32 v22, v13
	s_mov_b32 s13, 0x3f3bfb3b
	s_mov_b32 s14, 0xbf3bfb3b
	;; [unrolled: 1-line block ×3, first 2 shown]
	v_fmac_f32_e32 v22, 0xbf955555, v27
	v_fma_f32 v27, v30, s13, -v28
	v_fma_f32 v28, v31, s13, -v29
	;; [unrolled: 1-line block ×3, first 2 shown]
	v_fmac_f32_e32 v17, 0x3d64c772, v24
	v_fma_f32 v24, v31, s14, -v18
	v_fmac_f32_e32 v18, 0x3d64c772, v25
	v_fma_f32 v23, v23, s12, -v40
	v_fma_f32 v25, v26, s12, -v41
	v_fmac_f32_e32 v41, 0xbeae86e6, v20
	v_fma_f32 v26, v21, s15, -v82
	v_fma_f32 v30, v20, s15, -v83
	v_fmac_f32_e32 v40, 0xbeae86e6, v21
	v_add_f32_e32 v31, v17, v84
	v_add_f32_e32 v27, v27, v84
	;; [unrolled: 1-line block ×5, first 2 shown]
	v_fmac_f32_e32 v41, 0xbee1c552, v16
	v_fmac_f32_e32 v23, 0xbee1c552, v19
	;; [unrolled: 1-line block ×5, first 2 shown]
	v_add_f32_e32 v82, v18, v22
	v_fmac_f32_e32 v40, 0xbee1c552, v19
	v_add_f32_e32 v16, v41, v31
	v_add_f32_e32 v18, v30, v29
	v_sub_f32_e32 v19, v83, v26
	v_sub_f32_e32 v20, v27, v25
	v_add_f32_e32 v21, v23, v28
	v_add_f32_e32 v22, v25, v27
	v_sub_f32_e32 v23, v28, v23
	v_sub_f32_e32 v24, v29, v30
	v_add_f32_e32 v25, v26, v83
	v_sub_f32_e32 v26, v31, v41
	v_add_f32_e32 v28, v42, v80
	v_add_f32_e32 v29, v36, v81
	v_sub_f32_e32 v31, v36, v81
	v_add_f32_e32 v36, v37, v35
	v_sub_f32_e32 v17, v82, v40
	v_add_f32_e32 v27, v40, v82
	v_add_f32_e32 v40, v38, v43
	v_sub_f32_e32 v35, v37, v35
	v_sub_f32_e32 v37, v38, v43
	v_add_f32_e32 v38, v39, v33
	v_add_f32_e32 v41, v32, v34
	v_sub_f32_e32 v32, v34, v32
	v_add_f32_e32 v34, v36, v28
	v_sub_f32_e32 v33, v33, v39
	v_add_f32_e32 v39, v40, v29
	v_add_f32_e32 v34, v38, v34
	v_sub_f32_e32 v30, v42, v80
	v_sub_f32_e32 v42, v36, v28
	;; [unrolled: 1-line block ×4, first 2 shown]
	v_add_f32_e32 v38, v41, v39
	v_add_f32_e32 v14, v14, v34
	v_sub_f32_e32 v43, v40, v29
	v_sub_f32_e32 v29, v29, v41
	;; [unrolled: 1-line block ×3, first 2 shown]
	v_add_f32_e32 v80, v33, v35
	v_add_f32_e32 v81, v32, v37
	v_sub_f32_e32 v82, v33, v35
	v_sub_f32_e32 v83, v32, v37
	;; [unrolled: 1-line block ×4, first 2 shown]
	v_add_f32_e32 v15, v15, v38
	v_mov_b32_e32 v84, v14
	v_sub_f32_e32 v33, v30, v33
	v_sub_f32_e32 v32, v31, v32
	v_add_f32_e32 v30, v80, v30
	v_add_f32_e32 v31, v81, v31
	v_mul_f32_e32 v28, 0x3f4a47b2, v28
	v_mul_f32_e32 v29, 0x3f4a47b2, v29
	;; [unrolled: 1-line block ×8, first 2 shown]
	v_fmac_f32_e32 v84, 0xbf955555, v34
	v_mov_b32_e32 v34, v15
	v_fmac_f32_e32 v34, 0xbf955555, v38
	v_fma_f32 v38, v42, s13, -v39
	v_fma_f32 v39, v43, s13, -v41
	v_fma_f32 v41, v42, s14, -v28
	v_fmac_f32_e32 v28, 0x3d64c772, v36
	v_fma_f32 v36, v43, s14, -v29
	v_fmac_f32_e32 v29, 0x3d64c772, v40
	v_fma_f32 v35, v35, s12, -v80
	;; [unrolled: 2-line block ×4, first 2 shown]
	v_fma_f32 v42, v32, s15, -v83
	v_add_u32_e32 v116, 0x5b0, v155
	v_add_u32_e32 v115, 0x888, v155
	;; [unrolled: 1-line block ×3, first 2 shown]
	v_add_f32_e32 v43, v28, v84
	v_add_f32_e32 v82, v29, v34
	;; [unrolled: 1-line block ×6, first 2 shown]
	v_fmac_f32_e32 v80, 0xbee1c552, v30
	v_fmac_f32_e32 v81, 0xbee1c552, v31
	;; [unrolled: 1-line block ×6, first 2 shown]
	v_add_f32_e32 v28, v81, v43
	v_sub_f32_e32 v29, v82, v80
	v_add_f32_e32 v30, v42, v41
	v_sub_f32_e32 v31, v83, v40
	v_sub_f32_e32 v32, v38, v37
	v_add_f32_e32 v33, v35, v39
	v_add_f32_e32 v34, v37, v38
	v_sub_f32_e32 v35, v39, v35
	v_sub_f32_e32 v36, v41, v42
	v_add_f32_e32 v37, v40, v83
	v_sub_f32_e32 v38, v43, v81
	v_add_f32_e32 v39, v80, v82
	s_barrier
	ds_write2_b64 v255, v[12:13], v[16:17] offset1:13
	ds_write2_b64 v255, v[18:19], v[20:21] offset0:26 offset1:39
	ds_write2_b64 v255, v[22:23], v[24:25] offset0:52 offset1:65
	ds_write_b64 v255, v[26:27] offset:624
	ds_write2_b64 v161, v[14:15], v[28:29] offset1:13
	ds_write2_b64 v161, v[30:31], v[32:33] offset0:26 offset1:39
	ds_write2_b64 v161, v[34:35], v[36:37] offset0:52 offset1:65
	ds_write_b64 v161, v[38:39] offset:624
	s_and_saveexec_b64 s[4:5], s[2:3]
	s_cbranch_execz .LBB0_21
; %bb.20:
	v_mul_f32_e32 v12, v1, v105
	v_mul_f32_e32 v13, v7, v113
	;; [unrolled: 1-line block ×4, first 2 shown]
	v_fmac_f32_e32 v12, v0, v104
	v_fmac_f32_e32 v13, v6, v112
	v_mul_f32_e32 v16, v9, v107
	v_fma_f32 v6, v6, v113, -v7
	v_fma_f32 v7, v0, v105, -v1
	v_mul_f32_e32 v0, v9, v106
	v_fmac_f32_e32 v16, v8, v106
	v_fma_f32 v8, v8, v107, -v0
	v_mul_f32_e32 v0, v11, v110
	v_fma_f32 v9, v10, v111, -v0
	v_add_f32_e32 v24, v6, v7
	v_add_f32_e32 v0, v9, v8
	v_mul_f32_e32 v15, v11, v111
	v_sub_f32_e32 v1, v24, v0
	v_fmac_f32_e32 v15, v10, v110
	v_mul_f32_e32 v20, v5, v109
	v_mul_f32_e32 v10, 0x3f4a47b2, v1
	;; [unrolled: 1-line block ×4, first 2 shown]
	v_fmac_f32_e32 v20, v4, v108
	v_fma_f32 v4, v4, v109, -v1
	v_mul_f32_e32 v1, v3, v102
	v_fmac_f32_e32 v19, v2, v102
	v_fma_f32 v2, v2, v103, -v1
	v_add_f32_e32 v5, v4, v2
	v_sub_f32_e32 v1, v0, v5
	v_mov_b32_e32 v3, v10
	v_mul_f32_e32 v11, 0x3d64c772, v1
	v_fmac_f32_e32 v3, 0x3d64c772, v1
	v_add_f32_e32 v1, v5, v24
	v_add_f32_e32 v0, v0, v1
	;; [unrolled: 1-line block ×3, first 2 shown]
	v_mov_b32_e32 v25, v1
	v_sub_f32_e32 v14, v12, v13
	v_fmac_f32_e32 v25, 0xbf955555, v0
	v_add_f32_e32 v12, v13, v12
	v_add_f32_e32 v0, v15, v16
	v_sub_f32_e32 v13, v12, v0
	v_sub_f32_e32 v17, v15, v16
	v_mul_f32_e32 v13, 0x3f4a47b2, v13
	v_add_f32_e32 v15, v20, v19
	v_sub_f32_e32 v21, v19, v20
	v_sub_f32_e32 v16, v0, v15
	v_mov_b32_e32 v20, v13
	v_mul_f32_e32 v19, 0x3d64c772, v16
	v_fmac_f32_e32 v20, 0x3d64c772, v16
	v_add_f32_e32 v16, v15, v12
	v_add_f32_e32 v16, v0, v16
	v_sub_f32_e32 v6, v7, v6
	v_sub_f32_e32 v7, v9, v8
	;; [unrolled: 1-line block ×4, first 2 shown]
	v_add_f32_e32 v0, v100, v16
	v_sub_f32_e32 v2, v7, v4
	v_sub_f32_e32 v18, v14, v17
	v_mul_f32_e32 v22, 0x3f08b237, v22
	v_add_f32_e32 v17, v17, v21
	v_mov_b32_e32 v27, v0
	v_sub_f32_e32 v8, v6, v7
	v_mul_f32_e32 v9, 0x3f08b237, v2
	v_add_f32_e32 v2, v7, v4
	v_sub_f32_e32 v7, v21, v14
	v_mov_b32_e32 v23, v22
	v_add_f32_e32 v17, v17, v14
	v_fmac_f32_e32 v27, 0xbf955555, v16
	v_add_f32_e32 v28, v2, v6
	v_mul_f32_e32 v14, 0xbf5ff5aa, v7
	v_sub_f32_e32 v6, v4, v6
	v_fmac_f32_e32 v23, 0xbeae86e6, v18
	v_add_f32_e32 v16, v20, v27
	v_mov_b32_e32 v20, v9
	v_fma_f32 v14, v18, s15, -v14
	v_sub_f32_e32 v18, v5, v24
	v_mul_f32_e32 v4, 0xbf5ff5aa, v6
	v_fmac_f32_e32 v20, 0xbeae86e6, v8
	v_sub_f32_e32 v12, v15, v12
	v_fma_f32 v15, v8, s15, -v4
	v_fma_f32 v8, v18, s13, -v11
	;; [unrolled: 1-line block ×3, first 2 shown]
	v_fmac_f32_e32 v23, 0xbee1c552, v17
	v_fmac_f32_e32 v14, 0xbee1c552, v17
	v_fma_f32 v5, v18, s14, -v10
	v_fma_f32 v13, v12, s14, -v13
	v_fmac_f32_e32 v11, 0xbee1c552, v17
	v_fma_f32 v17, v6, s12, -v9
	v_fma_f32 v6, v12, s13, -v19
	v_add_f32_e32 v26, v3, v25
	v_fmac_f32_e32 v20, 0xbee1c552, v28
	v_add_f32_e32 v10, v5, v25
	v_add_f32_e32 v13, v13, v27
	v_fmac_f32_e32 v15, 0xbee1c552, v28
	v_add_f32_e32 v8, v8, v25
	v_fmac_f32_e32 v17, 0xbee1c552, v28
	v_add_f32_e32 v12, v6, v27
	v_add_f32_e32 v5, v14, v10
	v_sub_f32_e32 v4, v13, v15
	v_sub_f32_e32 v7, v8, v11
	v_add_f32_e32 v6, v17, v12
	v_add_f32_e32 v9, v11, v8
	v_sub_f32_e32 v8, v12, v17
	v_sub_f32_e32 v11, v10, v14
	v_add_f32_e32 v10, v15, v13
	v_sub_f32_e32 v13, v26, v23
	v_add_f32_e32 v12, v20, v16
	v_add_u32_e32 v14, 0x2400, v164
	ds_write2_b64 v14, v[0:1], v[12:13] offset0:122 offset1:135
	v_add_u32_e32 v0, 0x2800, v164
	v_add_f32_e32 v3, v23, v26
	v_sub_f32_e32 v2, v16, v20
	ds_write2_b64 v0, v[10:11], v[8:9] offset0:20 offset1:33
	ds_write2_b64 v0, v[6:7], v[4:5] offset0:46 offset1:59
	ds_write_b64 v164, v[2:3] offset:10816
.LBB0_21:
	s_or_b64 exec, exec, s[4:5]
	v_add_u32_e32 v6, 0x400, v155
	s_waitcnt lgkmcnt(0)
	s_barrier
	ds_read2_b64 v[11:14], v6 offset0:54 offset1:145
	v_add_u32_e32 v4, 0x1000, v155
	ds_read2_b64 v[15:18], v4 offset0:34 offset1:125
	v_add_u32_e32 v37, 0x1400, v155
	;; [unrolled: 2-line block ×4, first 2 shown]
	ds_read2_b64 v[27:30], v5 offset0:108 offset1:199
	s_waitcnt lgkmcnt(4)
	v_mul_f32_e32 v38, v49, v14
	v_fmac_f32_e32 v38, v48, v13
	v_mul_f32_e32 v13, v49, v13
	v_add_u32_e32 v3, 0x1800, v155
	v_fma_f32 v39, v48, v14, -v13
	s_waitcnt lgkmcnt(3)
	v_mul_f32_e32 v13, v51, v15
	ds_read2_b64 v[7:10], v155 offset1:91
	ds_read2_b64 v[31:34], v3 offset0:142 offset1:233
	ds_read_b64 v[35:36], v155 offset:10192
	v_fma_f32 v41, v50, v16, -v13
	s_waitcnt lgkmcnt(5)
	v_mul_f32_e32 v42, v45, v22
	v_mul_f32_e32 v13, v45, v21
	v_fmac_f32_e32 v42, v44, v21
	v_fma_f32 v21, v44, v22, -v13
	s_waitcnt lgkmcnt(4)
	v_mul_f32_e32 v22, v47, v24
	v_mul_f32_e32 v13, v47, v23
	;; [unrolled: 1-line block ×3, first 2 shown]
	v_fmac_f32_e32 v22, v46, v23
	v_fma_f32 v23, v46, v24, -v13
	s_waitcnt lgkmcnt(3)
	v_mul_f32_e32 v43, v49, v28
	v_mul_f32_e32 v13, v49, v27
	v_fmac_f32_e32 v40, v50, v15
	v_fmac_f32_e32 v43, v48, v27
	v_fma_f32 v48, v48, v28, -v13
	v_mul_f32_e32 v28, v51, v18
	v_mul_f32_e32 v13, v51, v17
	v_fmac_f32_e32 v28, v50, v17
	v_fma_f32 v49, v50, v18, -v13
	s_waitcnt lgkmcnt(1)
	v_mul_f32_e32 v50, v45, v32
	v_mul_f32_e32 v13, v45, v31
	v_add_f32_e32 v14, v40, v42
	v_fmac_f32_e32 v50, v44, v31
	v_fma_f32 v31, v44, v32, -v13
	v_mul_f32_e32 v13, v47, v25
	v_fma_f32 v15, -0.5, v14, v7
	v_mul_f32_e32 v32, v47, v26
	v_fma_f32 v44, v46, v26, -v13
	v_mul_f32_e32 v13, v57, v29
	v_mul_f32_e32 v47, v59, v20
	v_sub_f32_e32 v14, v39, v23
	v_mov_b32_e32 v17, v15
	v_fmac_f32_e32 v32, v46, v25
	v_mul_f32_e32 v45, v57, v30
	v_fma_f32 v46, v56, v30, -v13
	v_fmac_f32_e32 v47, v58, v19
	v_mul_f32_e32 v13, v59, v19
	v_fmac_f32_e32 v17, 0xbf737871, v14
	v_sub_f32_e32 v16, v41, v21
	v_sub_f32_e32 v18, v38, v40
	;; [unrolled: 1-line block ×3, first 2 shown]
	v_fmac_f32_e32 v15, 0x3f737871, v14
	v_fmac_f32_e32 v45, v56, v29
	v_fma_f32 v51, v58, v20, -v13
	v_mul_f32_e32 v56, v53, v34
	v_mul_f32_e32 v13, v53, v33
	v_fmac_f32_e32 v17, 0xbf167918, v16
	v_add_f32_e32 v18, v18, v19
	v_fmac_f32_e32 v15, 0x3f167918, v16
	v_fmac_f32_e32 v56, v52, v33
	v_fma_f32 v52, v52, v34, -v13
	s_waitcnt lgkmcnt(0)
	v_mul_f32_e32 v13, v55, v35
	v_fmac_f32_e32 v17, 0x3e9e377a, v18
	v_fmac_f32_e32 v15, 0x3e9e377a, v18
	v_add_f32_e32 v18, v38, v22
	v_fma_f32 v53, v54, v36, -v13
	v_add_f32_e32 v13, v7, v38
	v_fma_f32 v7, -0.5, v18, v7
	v_mov_b32_e32 v19, v7
	v_add_f32_e32 v13, v13, v40
	v_fmac_f32_e32 v19, 0x3f737871, v16
	v_sub_f32_e32 v18, v40, v38
	v_sub_f32_e32 v20, v42, v22
	v_fmac_f32_e32 v7, 0xbf737871, v16
	v_add_f32_e32 v16, v41, v21
	v_add_f32_e32 v13, v13, v42
	v_fmac_f32_e32 v19, 0xbf167918, v14
	v_add_f32_e32 v18, v18, v20
	v_fmac_f32_e32 v7, 0x3f167918, v14
	v_fma_f32 v16, -0.5, v16, v8
	v_add_f32_e32 v13, v13, v22
	v_fmac_f32_e32 v19, 0x3e9e377a, v18
	v_fmac_f32_e32 v7, 0x3e9e377a, v18
	v_sub_f32_e32 v22, v38, v22
	v_mov_b32_e32 v18, v16
	v_fmac_f32_e32 v18, 0x3f737871, v22
	v_sub_f32_e32 v24, v40, v42
	v_sub_f32_e32 v20, v39, v41
	;; [unrolled: 1-line block ×3, first 2 shown]
	v_fmac_f32_e32 v16, 0xbf737871, v22
	v_fmac_f32_e32 v18, 0x3f167918, v24
	v_add_f32_e32 v20, v20, v25
	v_fmac_f32_e32 v16, 0xbf167918, v24
	v_fmac_f32_e32 v18, 0x3e9e377a, v20
	;; [unrolled: 1-line block ×3, first 2 shown]
	v_add_f32_e32 v20, v39, v23
	v_add_f32_e32 v14, v8, v39
	v_fma_f32 v8, -0.5, v20, v8
	v_mov_b32_e32 v20, v8
	v_add_f32_e32 v14, v14, v41
	v_fmac_f32_e32 v20, 0xbf737871, v24
	v_fmac_f32_e32 v8, 0x3f737871, v24
	v_add_f32_e32 v14, v14, v21
	v_fmac_f32_e32 v20, 0x3f167918, v22
	v_fmac_f32_e32 v8, 0xbf167918, v22
	v_add_f32_e32 v22, v28, v50
	v_add_f32_e32 v14, v14, v23
	v_sub_f32_e32 v25, v41, v39
	v_sub_f32_e32 v21, v21, v23
	v_fma_f32 v23, -0.5, v22, v9
	v_add_f32_e32 v21, v25, v21
	v_sub_f32_e32 v22, v48, v44
	v_mov_b32_e32 v25, v23
	v_fmac_f32_e32 v25, 0xbf737871, v22
	v_sub_f32_e32 v24, v49, v31
	v_sub_f32_e32 v26, v43, v28
	;; [unrolled: 1-line block ×3, first 2 shown]
	v_fmac_f32_e32 v23, 0x3f737871, v22
	v_fmac_f32_e32 v25, 0xbf167918, v24
	v_add_f32_e32 v26, v26, v27
	v_fmac_f32_e32 v23, 0x3f167918, v24
	v_fmac_f32_e32 v25, 0x3e9e377a, v26
	;; [unrolled: 1-line block ×3, first 2 shown]
	v_add_f32_e32 v26, v43, v32
	v_fmac_f32_e32 v20, 0x3e9e377a, v21
	v_fmac_f32_e32 v8, 0x3e9e377a, v21
	v_add_f32_e32 v21, v9, v43
	v_fma_f32 v9, -0.5, v26, v9
	v_mov_b32_e32 v27, v9
	v_fmac_f32_e32 v27, 0x3f737871, v24
	v_sub_f32_e32 v26, v28, v43
	v_sub_f32_e32 v29, v50, v32
	v_fmac_f32_e32 v9, 0xbf737871, v24
	v_add_f32_e32 v24, v49, v31
	v_add_f32_e32 v21, v21, v28
	v_fmac_f32_e32 v27, 0xbf167918, v22
	v_add_f32_e32 v26, v26, v29
	v_fmac_f32_e32 v9, 0x3f167918, v22
	v_fma_f32 v24, -0.5, v24, v10
	v_add_f32_e32 v21, v21, v50
	v_fmac_f32_e32 v27, 0x3e9e377a, v26
	v_fmac_f32_e32 v9, 0x3e9e377a, v26
	v_sub_f32_e32 v29, v43, v32
	v_mov_b32_e32 v26, v24
	v_add_f32_e32 v21, v21, v32
	v_fmac_f32_e32 v26, 0x3f737871, v29
	v_sub_f32_e32 v30, v28, v50
	v_sub_f32_e32 v28, v48, v49
	v_sub_f32_e32 v32, v44, v31
	v_fmac_f32_e32 v24, 0xbf737871, v29
	v_fmac_f32_e32 v26, 0x3f167918, v30
	v_add_f32_e32 v28, v28, v32
	v_fmac_f32_e32 v24, 0xbf167918, v30
	v_fmac_f32_e32 v26, 0x3e9e377a, v28
	;; [unrolled: 1-line block ×3, first 2 shown]
	v_add_f32_e32 v28, v48, v44
	v_add_f32_e32 v22, v10, v48
	v_fmac_f32_e32 v10, -0.5, v28
	v_add_f32_e32 v22, v22, v49
	v_mov_b32_e32 v28, v10
	v_add_f32_e32 v22, v22, v31
	v_fmac_f32_e32 v28, 0xbf737871, v30
	v_sub_f32_e32 v32, v49, v48
	v_sub_f32_e32 v31, v31, v44
	v_fmac_f32_e32 v10, 0x3f737871, v30
	v_fmac_f32_e32 v28, 0x3f167918, v29
	v_add_f32_e32 v31, v32, v31
	v_fmac_f32_e32 v10, 0xbf167918, v29
	v_add_f32_e32 v30, v47, v56
	v_mul_f32_e32 v34, v55, v36
	v_fmac_f32_e32 v28, 0x3e9e377a, v31
	v_fmac_f32_e32 v10, 0x3e9e377a, v31
	v_fma_f32 v31, -0.5, v30, v11
	v_fmac_f32_e32 v34, v54, v35
	v_sub_f32_e32 v30, v46, v53
	v_mov_b32_e32 v33, v31
	v_fmac_f32_e32 v33, 0xbf737871, v30
	v_sub_f32_e32 v32, v51, v52
	v_sub_f32_e32 v35, v45, v47
	;; [unrolled: 1-line block ×3, first 2 shown]
	v_fmac_f32_e32 v31, 0x3f737871, v30
	v_fmac_f32_e32 v33, 0xbf167918, v32
	v_add_f32_e32 v35, v35, v36
	v_fmac_f32_e32 v31, 0x3f167918, v32
	v_fmac_f32_e32 v33, 0x3e9e377a, v35
	;; [unrolled: 1-line block ×3, first 2 shown]
	v_add_f32_e32 v35, v45, v34
	v_add_f32_e32 v29, v11, v45
	v_fma_f32 v11, -0.5, v35, v11
	v_mov_b32_e32 v35, v11
	v_add_f32_e32 v29, v29, v47
	v_fmac_f32_e32 v35, 0x3f737871, v32
	v_fmac_f32_e32 v11, 0xbf737871, v32
	v_add_f32_e32 v32, v51, v52
	v_add_f32_e32 v29, v29, v56
	v_sub_f32_e32 v36, v47, v45
	v_sub_f32_e32 v38, v56, v34
	v_fma_f32 v32, -0.5, v32, v12
	v_add_f32_e32 v29, v29, v34
	v_fmac_f32_e32 v35, 0xbf167918, v30
	v_add_f32_e32 v36, v36, v38
	v_fmac_f32_e32 v11, 0x3f167918, v30
	v_sub_f32_e32 v38, v45, v34
	v_mov_b32_e32 v34, v32
	v_fmac_f32_e32 v35, 0x3e9e377a, v36
	v_fmac_f32_e32 v11, 0x3e9e377a, v36
	;; [unrolled: 1-line block ×3, first 2 shown]
	v_sub_f32_e32 v39, v47, v56
	v_sub_f32_e32 v36, v46, v51
	;; [unrolled: 1-line block ×3, first 2 shown]
	v_fmac_f32_e32 v32, 0xbf737871, v38
	v_fmac_f32_e32 v34, 0x3f167918, v39
	v_add_f32_e32 v36, v36, v40
	v_fmac_f32_e32 v32, 0xbf167918, v39
	v_fmac_f32_e32 v34, 0x3e9e377a, v36
	;; [unrolled: 1-line block ×3, first 2 shown]
	v_add_f32_e32 v36, v46, v53
	v_add_f32_e32 v30, v12, v46
	v_fmac_f32_e32 v12, -0.5, v36
	v_add_f32_e32 v30, v30, v51
	v_mov_b32_e32 v36, v12
	v_add_f32_e32 v30, v30, v52
	v_fmac_f32_e32 v36, 0xbf737871, v39
	v_sub_f32_e32 v40, v51, v46
	v_sub_f32_e32 v41, v52, v53
	v_fmac_f32_e32 v12, 0x3f737871, v39
	v_add_f32_e32 v22, v22, v44
	v_add_f32_e32 v30, v30, v53
	v_fmac_f32_e32 v36, 0x3f167918, v38
	v_add_f32_e32 v40, v40, v41
	v_fmac_f32_e32 v12, 0xbf167918, v38
	s_barrier
	ds_write2_b64 v155, v[13:14], v[17:18] offset1:91
	ds_write2_b64 v6, v[19:20], v[7:8] offset0:54 offset1:145
	ds_write2_b64 v5, v[15:16], v[21:22] offset0:108 offset1:199
	;; [unrolled: 1-line block ×4, first 2 shown]
	v_add_u32_e32 v7, 0x1800, v162
	v_fmac_f32_e32 v36, 0x3e9e377a, v40
	v_fmac_f32_e32 v12, 0x3e9e377a, v40
	ds_write2_b64 v7, v[29:30], v[33:34] offset0:142 offset1:233
	v_add_u32_e32 v7, 0x2000, v162
	ds_write2_b64 v7, v[35:36], v[11:12] offset0:68 offset1:159
	ds_write_b64 v162, v[31:32] offset:10192
	s_waitcnt lgkmcnt(0)
	s_barrier
	ds_read2_b64 v[7:10], v155 offset1:91
	ds_read2_b64 v[11:14], v5 offset0:108 offset1:199
	ds_read2_b64 v[15:18], v3 offset0:142 offset1:233
	;; [unrolled: 1-line block ×6, first 2 shown]
	ds_read_b64 v[35:36], v155 offset:10192
	s_waitcnt lgkmcnt(6)
	v_mul_f32_e32 v37, v61, v14
	v_fmac_f32_e32 v37, v60, v13
	v_mul_f32_e32 v13, v61, v13
	v_fma_f32 v38, v60, v14, -v13
	s_waitcnt lgkmcnt(5)
	v_mul_f32_e32 v13, v63, v15
	v_mul_f32_e32 v39, v63, v16
	v_fma_f32 v16, v62, v16, -v13
	s_waitcnt lgkmcnt(4)
	v_mul_f32_e32 v13, v65, v19
	v_mul_f32_e32 v40, v65, v20
	v_fma_f32 v20, v64, v20, -v13
	v_mul_f32_e32 v13, v67, v17
	v_fma_f32 v42, v66, v18, -v13
	;; [unrolled: 2-line block ×3, first 2 shown]
	s_waitcnt lgkmcnt(2)
	v_mul_f32_e32 v13, v71, v27
	v_mul_f32_e32 v45, v71, v28
	v_fma_f32 v28, v70, v28, -v13
	s_waitcnt lgkmcnt(1)
	v_mul_f32_e32 v13, v73, v31
	v_mul_f32_e32 v46, v73, v32
	v_fma_f32 v32, v72, v32, -v13
	v_mul_f32_e32 v13, v75, v29
	v_fmac_f32_e32 v39, v62, v15
	v_fma_f32 v48, v74, v30, -v13
	v_mul_f32_e32 v13, v77, v33
	v_fma_f32 v50, v76, v34, -v13
	s_waitcnt lgkmcnt(0)
	v_mul_f32_e32 v13, v79, v35
	v_add_f32_e32 v14, v37, v39
	v_mul_f32_e32 v51, v79, v36
	v_fma_f32 v36, v78, v36, -v13
	v_add_f32_e32 v13, v7, v37
	v_fma_f32 v7, -0.5, v14, v7
	v_sub_f32_e32 v14, v38, v16
	v_mov_b32_e32 v15, v7
	v_fmac_f32_e32 v15, 0xbf5db3d7, v14
	v_fmac_f32_e32 v7, 0x3f5db3d7, v14
	v_add_f32_e32 v14, v8, v38
	v_mul_f32_e32 v41, v67, v18
	v_add_f32_e32 v14, v14, v16
	v_add_f32_e32 v16, v38, v16
	v_fmac_f32_e32 v40, v64, v19
	v_fmac_f32_e32 v41, v66, v17
	v_fma_f32 v8, -0.5, v16, v8
	v_sub_f32_e32 v17, v37, v39
	v_mov_b32_e32 v16, v8
	v_add_f32_e32 v18, v40, v41
	v_fmac_f32_e32 v16, 0x3f5db3d7, v17
	v_fmac_f32_e32 v8, 0xbf5db3d7, v17
	v_add_f32_e32 v17, v9, v40
	v_fma_f32 v9, -0.5, v18, v9
	v_sub_f32_e32 v18, v20, v42
	v_mov_b32_e32 v19, v9
	v_mul_f32_e32 v43, v69, v22
	v_fmac_f32_e32 v19, 0xbf5db3d7, v18
	v_fmac_f32_e32 v9, 0x3f5db3d7, v18
	v_add_f32_e32 v18, v10, v20
	v_add_f32_e32 v20, v20, v42
	v_fmac_f32_e32 v43, v68, v21
	v_fmac_f32_e32 v45, v70, v27
	v_fmac_f32_e32 v10, -0.5, v20
	v_sub_f32_e32 v21, v40, v41
	v_mov_b32_e32 v20, v10
	v_add_f32_e32 v22, v43, v45
	v_fmac_f32_e32 v20, 0x3f5db3d7, v21
	v_fmac_f32_e32 v10, 0xbf5db3d7, v21
	v_add_f32_e32 v21, v23, v43
	v_fma_f32 v23, -0.5, v22, v23
	v_sub_f32_e32 v22, v44, v28
	v_mov_b32_e32 v27, v23
	v_fmac_f32_e32 v27, 0xbf5db3d7, v22
	v_fmac_f32_e32 v23, 0x3f5db3d7, v22
	v_add_f32_e32 v22, v24, v44
	v_mul_f32_e32 v47, v75, v30
	v_add_f32_e32 v22, v22, v28
	v_add_f32_e32 v28, v44, v28
	v_fmac_f32_e32 v46, v72, v31
	v_fmac_f32_e32 v47, v74, v29
	v_fma_f32 v24, -0.5, v28, v24
	v_sub_f32_e32 v29, v43, v45
	v_mov_b32_e32 v28, v24
	v_add_f32_e32 v30, v46, v47
	v_fmac_f32_e32 v28, 0x3f5db3d7, v29
	v_fmac_f32_e32 v24, 0xbf5db3d7, v29
	v_add_f32_e32 v29, v25, v46
	v_fma_f32 v25, -0.5, v30, v25
	v_sub_f32_e32 v30, v32, v48
	v_mov_b32_e32 v31, v25
	v_mul_f32_e32 v49, v77, v34
	v_fmac_f32_e32 v31, 0xbf5db3d7, v30
	v_fmac_f32_e32 v25, 0x3f5db3d7, v30
	v_add_f32_e32 v30, v26, v32
	v_add_f32_e32 v32, v32, v48
	v_fmac_f32_e32 v49, v76, v33
	v_fmac_f32_e32 v51, v78, v35
	v_fmac_f32_e32 v26, -0.5, v32
	v_sub_f32_e32 v33, v46, v47
	v_mov_b32_e32 v32, v26
	v_add_f32_e32 v34, v49, v51
	v_fmac_f32_e32 v32, 0x3f5db3d7, v33
	v_fmac_f32_e32 v26, 0xbf5db3d7, v33
	v_add_f32_e32 v33, v11, v49
	v_fma_f32 v11, -0.5, v34, v11
	v_sub_f32_e32 v34, v50, v36
	v_mov_b32_e32 v35, v11
	v_fmac_f32_e32 v35, 0xbf5db3d7, v34
	v_fmac_f32_e32 v11, 0x3f5db3d7, v34
	v_add_f32_e32 v34, v12, v50
	v_add_f32_e32 v13, v13, v39
	;; [unrolled: 1-line block ×4, first 2 shown]
	v_fmac_f32_e32 v12, -0.5, v36
	ds_write_b64 v155, v[13:14]
	v_add_u32_e32 v13, 0xc00, v158
	v_sub_f32_e32 v37, v49, v51
	v_mov_b32_e32 v36, v12
	ds_write2_b64 v13, v[15:16], v[19:20] offset0:71 offset1:162
	v_add_u32_e32 v13, 0x1800, v158
	v_add_f32_e32 v17, v17, v41
	v_add_f32_e32 v18, v18, v42
	;; [unrolled: 1-line block ×6, first 2 shown]
	v_fmac_f32_e32 v36, 0x3f5db3d7, v37
	v_fmac_f32_e32 v12, 0xbf5db3d7, v37
	ds_write2_b64 v13, v[7:8], v[9:10] offset0:142 offset1:233
	ds_write2_b64 v158, v[17:18], v[21:22] offset0:91 offset1:182
	ds_write_b64 v116, v[27:28] offset:3640
	ds_write_b64 v116, v[23:24] offset:7280
	;; [unrolled: 1-line block ×8, first 2 shown]
	s_waitcnt lgkmcnt(0)
	s_barrier
	ds_read2_b64 v[7:10], v155 offset1:105
	v_mad_u64_u32 v[0:1], s[2:3], s10, v141, 0
	v_mad_u64_u32 v[14:15], s[4:5], s8, v138, 0
	;; [unrolled: 1-line block ×3, first 2 shown]
	s_waitcnt lgkmcnt(0)
	v_mul_f32_e32 v1, v160, v8
	v_fmac_f32_e32 v1, v159, v7
	v_cvt_f64_f32_e32 v[12:13], v1
	v_mul_f32_e32 v1, v160, v7
	v_fma_f32 v1, v159, v8, -v1
	v_cvt_f64_f32_e32 v[7:8], v1
	s_mov_b32 s2, 0x18018018
	s_mov_b32 s3, 0x3f480180
	v_mul_f64 v[12:13], v[12:13], s[2:3]
	v_mul_f64 v[7:8], v[7:8], s[2:3]
	v_mov_b32_e32 v1, v11
	v_mov_b32_e32 v11, v15
	v_lshlrev_b64 v[0:1], 3, v[0:1]
	s_movk_i32 s11, 0x1000
	s_movk_i32 s10, 0x2000
	v_mad_u64_u32 v[15:16], s[4:5], s9, v138, v[11:12]
	v_cvt_f32_f64_e32 v11, v[12:13]
	v_cvt_f32_f64_e32 v12, v[7:8]
	v_mul_f32_e32 v7, v157, v10
	v_fmac_f32_e32 v7, v156, v9
	v_cvt_f64_f32_e32 v[7:8], v7
	v_mul_f32_e32 v9, v157, v9
	v_fma_f32 v9, v156, v10, -v9
	v_mov_b32_e32 v13, s7
	v_cvt_f64_f32_e32 v[9:10], v9
	v_add_co_u32_e32 v16, vcc, s6, v0
	v_addc_co_u32_e32 v17, vcc, v13, v1, vcc
	v_mul_f64 v[0:1], v[7:8], s[2:3]
	v_lshlrev_b64 v[7:8], 3, v[14:15]
	v_mul_f64 v[13:14], v[9:10], s[2:3]
	v_add_co_u32_e32 v15, vcc, v16, v7
	v_addc_co_u32_e32 v16, vcc, v17, v8, vcc
	ds_read2_b64 v[7:10], v6 offset0:82 offset1:187
	global_store_dwordx2 v[15:16], v[11:12], off
	s_mul_i32 s4, s9, 0x69
	s_mul_hi_u32 s5, s8, 0x69
	v_cvt_f32_f64_e32 v0, v[0:1]
	s_waitcnt lgkmcnt(0)
	v_mul_f32_e32 v11, v145, v8
	v_fmac_f32_e32 v11, v144, v7
	v_mul_f32_e32 v7, v145, v7
	v_fma_f32 v7, v144, v8, -v7
	v_cvt_f64_f32_e32 v[7:8], v7
	v_cvt_f64_f32_e32 v[11:12], v11
	v_cvt_f32_f64_e32 v1, v[13:14]
	s_add_i32 s5, s5, s4
	v_mul_f64 v[7:8], v[7:8], s[2:3]
	v_mul_f64 v[11:12], v[11:12], s[2:3]
	s_mul_i32 s4, s8, 0x69
	s_lshl_b64 s[4:5], s[4:5], 3
	v_mov_b32_e32 v19, s5
	v_add_co_u32_e32 v13, vcc, s4, v15
	v_addc_co_u32_e32 v14, vcc, v16, v19, vcc
	global_store_dwordx2 v[13:14], v[0:1], off
	v_cvt_f32_f64_e32 v1, v[7:8]
	v_mul_f32_e32 v7, v140, v10
	v_fmac_f32_e32 v7, v139, v9
	v_cvt_f32_f64_e32 v0, v[11:12]
	v_cvt_f64_f32_e32 v[11:12], v7
	v_mul_f32_e32 v7, v140, v9
	v_fma_f32 v7, v139, v10, -v7
	v_cvt_f64_f32_e32 v[15:16], v7
	v_add_u32_e32 v7, 0xc00, v155
	ds_read2_b64 v[7:10], v7 offset0:36 offset1:141
	v_mul_f64 v[11:12], v[11:12], s[2:3]
	v_mul_f64 v[15:16], v[15:16], s[2:3]
	v_add_co_u32_e32 v13, vcc, s4, v13
	s_waitcnt lgkmcnt(0)
	v_mul_f32_e32 v17, v137, v8
	v_fmac_f32_e32 v17, v136, v7
	v_mul_f32_e32 v7, v137, v7
	v_fma_f32 v7, v136, v8, -v7
	v_cvt_f64_f32_e32 v[7:8], v7
	v_cvt_f64_f32_e32 v[17:18], v17
	v_addc_co_u32_e32 v14, vcc, v14, v19, vcc
	v_mul_f64 v[7:8], v[7:8], s[2:3]
	global_store_dwordx2 v[13:14], v[0:1], off
	v_cvt_f32_f64_e32 v0, v[11:12]
	v_mul_f64 v[11:12], v[17:18], s[2:3]
	v_cvt_f32_f64_e32 v1, v[15:16]
	v_add_co_u32_e32 v13, vcc, s4, v13
	v_addc_co_u32_e32 v14, vcc, v14, v19, vcc
	global_store_dwordx2 v[13:14], v[0:1], off
	v_cvt_f32_f64_e32 v1, v[7:8]
	v_mul_f32_e32 v7, v135, v10
	v_fmac_f32_e32 v7, v134, v9
	v_cvt_f32_f64_e32 v0, v[11:12]
	v_cvt_f64_f32_e32 v[11:12], v7
	v_mul_f32_e32 v7, v135, v9
	v_fma_f32 v7, v134, v10, -v7
	v_cvt_f64_f32_e32 v[15:16], v7
	ds_read2_b64 v[7:10], v4 offset0:118 offset1:223
	v_mul_f64 v[11:12], v[11:12], s[2:3]
	v_add_co_u32_e32 v13, vcc, s4, v13
	v_mul_f64 v[15:16], v[15:16], s[2:3]
	s_waitcnt lgkmcnt(0)
	v_mul_f32_e32 v17, v143, v8
	v_fmac_f32_e32 v17, v142, v7
	v_mul_f32_e32 v7, v143, v7
	v_fma_f32 v7, v142, v8, -v7
	v_cvt_f64_f32_e32 v[7:8], v7
	v_cvt_f64_f32_e32 v[17:18], v17
	v_addc_co_u32_e32 v14, vcc, v14, v19, vcc
	v_mul_f64 v[7:8], v[7:8], s[2:3]
	global_store_dwordx2 v[13:14], v[0:1], off
	v_cvt_f32_f64_e32 v0, v[11:12]
	v_mul_f64 v[11:12], v[17:18], s[2:3]
	v_cvt_f32_f64_e32 v1, v[15:16]
	v_add_co_u32_e32 v13, vcc, s4, v13
	v_addc_co_u32_e32 v14, vcc, v14, v19, vcc
	global_store_dwordx2 v[13:14], v[0:1], off
	v_cvt_f32_f64_e32 v1, v[7:8]
	v_mul_f32_e32 v7, v133, v10
	v_fmac_f32_e32 v7, v132, v9
	v_cvt_f32_f64_e32 v0, v[11:12]
	v_cvt_f64_f32_e32 v[11:12], v7
	v_mul_f32_e32 v7, v133, v9
	v_fma_f32 v7, v132, v10, -v7
	v_cvt_f64_f32_e32 v[15:16], v7
	ds_read2_b64 v[7:10], v3 offset0:72 offset1:177
	v_mul_f64 v[11:12], v[11:12], s[2:3]
	v_add_co_u32_e32 v13, vcc, s4, v13
	v_mul_f64 v[15:16], v[15:16], s[2:3]
	;; [unrolled: 28-line block ×3, first 2 shown]
	s_waitcnt lgkmcnt(0)
	v_mul_f32_e32 v17, v127, v8
	v_fmac_f32_e32 v17, v126, v7
	v_mul_f32_e32 v7, v127, v7
	v_fma_f32 v7, v126, v8, -v7
	v_cvt_f64_f32_e32 v[7:8], v7
	v_cvt_f64_f32_e32 v[17:18], v17
	v_addc_co_u32_e32 v14, vcc, v14, v19, vcc
	v_mul_f64 v[7:8], v[7:8], s[2:3]
	global_store_dwordx2 v[13:14], v[0:1], off
	v_cvt_f32_f64_e32 v0, v[11:12]
	v_mul_f64 v[11:12], v[17:18], s[2:3]
	v_cvt_f32_f64_e32 v1, v[15:16]
	v_add_co_u32_e32 v13, vcc, s4, v13
	v_addc_co_u32_e32 v14, vcc, v14, v19, vcc
	global_store_dwordx2 v[13:14], v[0:1], off
	v_cvt_f32_f64_e32 v1, v[7:8]
	v_mul_f32_e32 v7, v125, v10
	v_fmac_f32_e32 v7, v124, v9
	v_cvt_f32_f64_e32 v0, v[11:12]
	v_cvt_f64_f32_e32 v[7:8], v7
	ds_read_b64 v[11:12], v155 offset:10080
	v_mul_f32_e32 v9, v125, v9
	v_fma_f32 v9, v124, v10, -v9
	v_mul_f64 v[7:8], v[7:8], s[2:3]
	v_cvt_f64_f32_e32 v[9:10], v9
	s_waitcnt lgkmcnt(0)
	v_mul_f32_e32 v15, v123, v12
	v_fmac_f32_e32 v15, v122, v11
	v_mul_f32_e32 v11, v123, v11
	v_fma_f32 v11, v122, v12, -v11
	v_cvt_f64_f32_e32 v[15:16], v15
	v_cvt_f64_f32_e32 v[11:12], v11
	v_add_co_u32_e32 v13, vcc, s4, v13
	v_mul_f64 v[9:10], v[9:10], s[2:3]
	v_addc_co_u32_e32 v14, vcc, v14, v19, vcc
	global_store_dwordx2 v[13:14], v[0:1], off
	v_cvt_f32_f64_e32 v0, v[7:8]
	v_mul_f64 v[7:8], v[15:16], s[2:3]
	v_mul_f64 v[11:12], v[11:12], s[2:3]
	v_cvt_f32_f64_e32 v1, v[9:10]
	v_add_co_u32_e32 v9, vcc, s4, v13
	v_addc_co_u32_e32 v10, vcc, v14, v19, vcc
	v_cvt_f32_f64_e32 v7, v[7:8]
	v_cvt_f32_f64_e32 v8, v[11:12]
	global_store_dwordx2 v[9:10], v[0:1], off
	v_add_co_u32_e32 v0, vcc, s4, v9
	v_addc_co_u32_e32 v1, vcc, v10, v19, vcc
	global_store_dwordx2 v[0:1], v[7:8], off
	s_and_b64 exec, exec, s[0:1]
	s_cbranch_execz .LBB0_23
; %bb.22:
	global_load_dwordx2 v[7:8], v[120:121], off offset:728
	ds_read_b64 v[9:10], v158 offset:728
	v_mov_b32_e32 v13, s5
	s_waitcnt vmcnt(0) lgkmcnt(0)
	v_mul_f32_e32 v11, v10, v8
	v_mul_f32_e32 v8, v9, v8
	v_fmac_f32_e32 v11, v9, v7
	v_fma_f32 v9, v7, v10, -v8
	v_cvt_f64_f32_e32 v[7:8], v11
	v_cvt_f64_f32_e32 v[9:10], v9
	v_mov_b32_e32 v11, 0xffffdb78
	v_mad_u64_u32 v[0:1], s[0:1], s8, v11, v[0:1]
	v_mul_f64 v[7:8], v[7:8], s[2:3]
	v_mul_f64 v[9:10], v[9:10], s[2:3]
	s_mul_i32 s0, s9, 0xffffdb78
	s_sub_i32 s0, s0, s8
	v_add_u32_e32 v1, s0, v1
	v_cvt_f32_f64_e32 v7, v[7:8]
	v_cvt_f32_f64_e32 v8, v[9:10]
	global_store_dwordx2 v[0:1], v[7:8], off
	global_load_dwordx2 v[10:11], v[120:121], off offset:1568
	ds_read2_b64 v[6:9], v6 offset0:68 offset1:173
	v_add_co_u32_e32 v0, vcc, s4, v0
	v_addc_co_u32_e32 v1, vcc, v1, v13, vcc
	s_waitcnt vmcnt(0) lgkmcnt(0)
	v_mul_f32_e32 v12, v7, v11
	v_mul_f32_e32 v11, v6, v11
	v_fmac_f32_e32 v12, v6, v10
	v_fma_f32 v10, v10, v7, -v11
	v_cvt_f64_f32_e32 v[6:7], v12
	v_cvt_f64_f32_e32 v[10:11], v10
	v_mul_f64 v[6:7], v[6:7], s[2:3]
	v_mul_f64 v[10:11], v[10:11], s[2:3]
	v_cvt_f32_f64_e32 v6, v[6:7]
	v_cvt_f32_f64_e32 v7, v[10:11]
	global_store_dwordx2 v[0:1], v[6:7], off
	global_load_dwordx2 v[6:7], v[120:121], off offset:2408
	v_add_co_u32_e32 v0, vcc, s4, v0
	v_addc_co_u32_e32 v1, vcc, v1, v13, vcc
	s_waitcnt vmcnt(0)
	v_mul_f32_e32 v10, v9, v7
	v_mul_f32_e32 v7, v8, v7
	v_fmac_f32_e32 v10, v8, v6
	v_fma_f32 v8, v6, v9, -v7
	v_cvt_f64_f32_e32 v[6:7], v10
	v_cvt_f64_f32_e32 v[8:9], v8
	v_mul_f64 v[6:7], v[6:7], s[2:3]
	v_mul_f64 v[8:9], v[8:9], s[2:3]
	v_cvt_f32_f64_e32 v6, v[6:7]
	v_cvt_f32_f64_e32 v7, v[8:9]
	global_store_dwordx2 v[0:1], v[6:7], off
	global_load_dwordx2 v[9:10], v[120:121], off offset:3248
	ds_read2_b64 v[5:8], v5 offset0:150 offset1:255
	v_add_co_u32_e32 v0, vcc, s4, v0
	v_addc_co_u32_e32 v1, vcc, v1, v13, vcc
	s_waitcnt vmcnt(0) lgkmcnt(0)
	v_mul_f32_e32 v11, v6, v10
	v_mul_f32_e32 v10, v5, v10
	v_fmac_f32_e32 v11, v5, v9
	v_fma_f32 v9, v9, v6, -v10
	v_cvt_f64_f32_e32 v[5:6], v11
	v_cvt_f64_f32_e32 v[9:10], v9
	v_mul_f64 v[5:6], v[5:6], s[2:3]
	v_mul_f64 v[9:10], v[9:10], s[2:3]
	v_cvt_f32_f64_e32 v5, v[5:6]
	v_cvt_f32_f64_e32 v6, v[9:10]
	global_store_dwordx2 v[0:1], v[5:6], off
	global_load_dwordx2 v[5:6], v[120:121], off offset:4088
	s_waitcnt vmcnt(0)
	v_mul_f32_e32 v9, v8, v6
	v_mul_f32_e32 v6, v7, v6
	v_fmac_f32_e32 v9, v7, v5
	v_fma_f32 v7, v5, v8, -v6
	v_cvt_f64_f32_e32 v[5:6], v9
	v_cvt_f64_f32_e32 v[7:8], v7
	v_add_co_u32_e32 v9, vcc, s11, v120
	v_mul_f64 v[5:6], v[5:6], s[2:3]
	v_mul_f64 v[7:8], v[7:8], s[2:3]
	v_addc_co_u32_e32 v10, vcc, 0, v121, vcc
	v_add_co_u32_e32 v0, vcc, s4, v0
	v_addc_co_u32_e32 v1, vcc, v1, v13, vcc
	v_cvt_f32_f64_e32 v5, v[5:6]
	v_cvt_f32_f64_e32 v6, v[7:8]
	global_store_dwordx2 v[0:1], v[5:6], off
	global_load_dwordx2 v[11:12], v[9:10], off offset:832
	ds_read2_b64 v[4:7], v4 offset0:104 offset1:209
	v_add_co_u32_e32 v0, vcc, s4, v0
	v_addc_co_u32_e32 v1, vcc, v1, v13, vcc
	s_waitcnt vmcnt(0) lgkmcnt(0)
	v_mul_f32_e32 v8, v5, v12
	v_mul_f32_e32 v12, v4, v12
	v_fmac_f32_e32 v8, v4, v11
	v_fma_f32 v11, v11, v5, -v12
	v_cvt_f64_f32_e32 v[4:5], v8
	v_cvt_f64_f32_e32 v[11:12], v11
	v_mul_f64 v[4:5], v[4:5], s[2:3]
	v_mul_f64 v[11:12], v[11:12], s[2:3]
	v_cvt_f32_f64_e32 v4, v[4:5]
	v_cvt_f32_f64_e32 v5, v[11:12]
	global_store_dwordx2 v[0:1], v[4:5], off
	global_load_dwordx2 v[4:5], v[9:10], off offset:1672
	v_add_co_u32_e32 v0, vcc, s4, v0
	v_addc_co_u32_e32 v1, vcc, v1, v13, vcc
	s_waitcnt vmcnt(0)
	v_mul_f32_e32 v8, v7, v5
	v_mul_f32_e32 v5, v6, v5
	v_fmac_f32_e32 v8, v6, v4
	v_fma_f32 v6, v4, v7, -v5
	v_cvt_f64_f32_e32 v[4:5], v8
	v_cvt_f64_f32_e32 v[6:7], v6
	v_mul_f64 v[4:5], v[4:5], s[2:3]
	v_mul_f64 v[6:7], v[6:7], s[2:3]
	v_cvt_f32_f64_e32 v4, v[4:5]
	v_cvt_f32_f64_e32 v5, v[6:7]
	global_store_dwordx2 v[0:1], v[4:5], off
	global_load_dwordx2 v[7:8], v[9:10], off offset:2512
	ds_read2_b64 v[3:6], v3 offset0:58 offset1:163
	v_add_co_u32_e32 v0, vcc, s4, v0
	v_addc_co_u32_e32 v1, vcc, v1, v13, vcc
	s_waitcnt vmcnt(0) lgkmcnt(0)
	v_mul_f32_e32 v11, v4, v8
	v_mul_f32_e32 v8, v3, v8
	v_fmac_f32_e32 v11, v3, v7
	v_fma_f32 v7, v7, v4, -v8
	v_cvt_f64_f32_e32 v[3:4], v11
	v_cvt_f64_f32_e32 v[7:8], v7
	v_mul_f64 v[3:4], v[3:4], s[2:3]
	v_mul_f64 v[7:8], v[7:8], s[2:3]
	v_cvt_f32_f64_e32 v3, v[3:4]
	v_cvt_f32_f64_e32 v4, v[7:8]
	global_store_dwordx2 v[0:1], v[3:4], off
	global_load_dwordx2 v[3:4], v[9:10], off offset:3352
	s_waitcnt vmcnt(0)
	v_mul_f32_e32 v7, v6, v4
	v_mul_f32_e32 v4, v5, v4
	v_fmac_f32_e32 v7, v5, v3
	v_fma_f32 v5, v3, v6, -v4
	v_cvt_f64_f32_e32 v[3:4], v7
	v_cvt_f64_f32_e32 v[5:6], v5
	v_add_co_u32_e32 v7, vcc, s10, v120
	v_mul_f64 v[3:4], v[3:4], s[2:3]
	v_mul_f64 v[5:6], v[5:6], s[2:3]
	v_addc_co_u32_e32 v8, vcc, 0, v121, vcc
	v_cvt_f32_f64_e32 v3, v[3:4]
	v_cvt_f32_f64_e32 v4, v[5:6]
	v_add_co_u32_e32 v5, vcc, s4, v0
	v_addc_co_u32_e32 v6, vcc, v1, v13, vcc
	global_store_dwordx2 v[5:6], v[3:4], off
	global_load_dwordx2 v[9:10], v[7:8], off offset:96
	ds_read2_b64 v[0:3], v2 offset0:12 offset1:117
	s_waitcnt vmcnt(0) lgkmcnt(0)
	v_mul_f32_e32 v4, v1, v10
	v_mul_f32_e32 v10, v0, v10
	v_fmac_f32_e32 v4, v0, v9
	v_fma_f32 v9, v9, v1, -v10
	v_cvt_f64_f32_e32 v[0:1], v4
	v_cvt_f64_f32_e32 v[9:10], v9
	v_add_co_u32_e32 v4, vcc, s4, v5
	v_mul_f64 v[0:1], v[0:1], s[2:3]
	v_mul_f64 v[9:10], v[9:10], s[2:3]
	v_addc_co_u32_e32 v5, vcc, v6, v13, vcc
	v_cvt_f32_f64_e32 v0, v[0:1]
	v_cvt_f32_f64_e32 v1, v[9:10]
	global_store_dwordx2 v[4:5], v[0:1], off
	global_load_dwordx2 v[0:1], v[7:8], off offset:936
	v_add_co_u32_e32 v4, vcc, s4, v4
	v_addc_co_u32_e32 v5, vcc, v5, v13, vcc
	s_waitcnt vmcnt(0)
	v_mul_f32_e32 v6, v3, v1
	v_mul_f32_e32 v1, v2, v1
	v_fmac_f32_e32 v6, v2, v0
	v_fma_f32 v2, v0, v3, -v1
	v_cvt_f64_f32_e32 v[0:1], v6
	v_cvt_f64_f32_e32 v[2:3], v2
	v_mul_f64 v[0:1], v[0:1], s[2:3]
	v_mul_f64 v[2:3], v[2:3], s[2:3]
	v_cvt_f32_f64_e32 v0, v[0:1]
	v_cvt_f32_f64_e32 v1, v[2:3]
	global_store_dwordx2 v[4:5], v[0:1], off
	global_load_dwordx2 v[9:10], v[7:8], off offset:1776
	v_add_u32_e32 v0, 0x2400, v155
	ds_read2_b64 v[0:3], v0 offset0:94 offset1:199
	v_add_co_u32_e32 v4, vcc, s4, v4
	v_addc_co_u32_e32 v5, vcc, v5, v13, vcc
	s_waitcnt vmcnt(0) lgkmcnt(0)
	v_mul_f32_e32 v6, v1, v10
	v_mul_f32_e32 v10, v0, v10
	v_fmac_f32_e32 v6, v0, v9
	v_fma_f32 v9, v9, v1, -v10
	v_cvt_f64_f32_e32 v[0:1], v6
	v_cvt_f64_f32_e32 v[9:10], v9
	v_mul_f64 v[0:1], v[0:1], s[2:3]
	v_mul_f64 v[9:10], v[9:10], s[2:3]
	v_cvt_f32_f64_e32 v0, v[0:1]
	v_cvt_f32_f64_e32 v1, v[9:10]
	global_store_dwordx2 v[4:5], v[0:1], off
	global_load_dwordx2 v[0:1], v[7:8], off offset:2616
	s_waitcnt vmcnt(0)
	v_mul_f32_e32 v6, v3, v1
	v_mul_f32_e32 v1, v2, v1
	v_fmac_f32_e32 v6, v2, v0
	v_fma_f32 v2, v0, v3, -v1
	v_cvt_f64_f32_e32 v[0:1], v6
	v_cvt_f64_f32_e32 v[2:3], v2
	v_mul_f64 v[0:1], v[0:1], s[2:3]
	v_mul_f64 v[2:3], v[2:3], s[2:3]
	v_cvt_f32_f64_e32 v0, v[0:1]
	v_cvt_f32_f64_e32 v1, v[2:3]
	v_add_co_u32_e32 v2, vcc, s4, v4
	v_addc_co_u32_e32 v3, vcc, v5, v13, vcc
	global_store_dwordx2 v[2:3], v[0:1], off
.LBB0_23:
	s_endpgm
	.section	.rodata,"a",@progbits
	.p2align	6, 0x0
	.amdhsa_kernel bluestein_single_back_len1365_dim1_sp_op_CI_CI
		.amdhsa_group_segment_fixed_size 21840
		.amdhsa_private_segment_fixed_size 60
		.amdhsa_kernarg_size 104
		.amdhsa_user_sgpr_count 6
		.amdhsa_user_sgpr_private_segment_buffer 1
		.amdhsa_user_sgpr_dispatch_ptr 0
		.amdhsa_user_sgpr_queue_ptr 0
		.amdhsa_user_sgpr_kernarg_segment_ptr 1
		.amdhsa_user_sgpr_dispatch_id 0
		.amdhsa_user_sgpr_flat_scratch_init 0
		.amdhsa_user_sgpr_private_segment_size 0
		.amdhsa_uses_dynamic_stack 0
		.amdhsa_system_sgpr_private_segment_wavefront_offset 1
		.amdhsa_system_sgpr_workgroup_id_x 1
		.amdhsa_system_sgpr_workgroup_id_y 0
		.amdhsa_system_sgpr_workgroup_id_z 0
		.amdhsa_system_sgpr_workgroup_info 0
		.amdhsa_system_vgpr_workitem_id 0
		.amdhsa_next_free_vgpr 256
		.amdhsa_next_free_sgpr 24
		.amdhsa_reserve_vcc 1
		.amdhsa_reserve_flat_scratch 0
		.amdhsa_float_round_mode_32 0
		.amdhsa_float_round_mode_16_64 0
		.amdhsa_float_denorm_mode_32 3
		.amdhsa_float_denorm_mode_16_64 3
		.amdhsa_dx10_clamp 1
		.amdhsa_ieee_mode 1
		.amdhsa_fp16_overflow 0
		.amdhsa_exception_fp_ieee_invalid_op 0
		.amdhsa_exception_fp_denorm_src 0
		.amdhsa_exception_fp_ieee_div_zero 0
		.amdhsa_exception_fp_ieee_overflow 0
		.amdhsa_exception_fp_ieee_underflow 0
		.amdhsa_exception_fp_ieee_inexact 0
		.amdhsa_exception_int_div_zero 0
	.end_amdhsa_kernel
	.text
.Lfunc_end0:
	.size	bluestein_single_back_len1365_dim1_sp_op_CI_CI, .Lfunc_end0-bluestein_single_back_len1365_dim1_sp_op_CI_CI
                                        ; -- End function
	.section	.AMDGPU.csdata,"",@progbits
; Kernel info:
; codeLenInByte = 26976
; NumSgprs: 28
; NumVgprs: 256
; ScratchSize: 60
; MemoryBound: 0
; FloatMode: 240
; IeeeMode: 1
; LDSByteSize: 21840 bytes/workgroup (compile time only)
; SGPRBlocks: 3
; VGPRBlocks: 63
; NumSGPRsForWavesPerEU: 28
; NumVGPRsForWavesPerEU: 256
; Occupancy: 1
; WaveLimiterHint : 1
; COMPUTE_PGM_RSRC2:SCRATCH_EN: 1
; COMPUTE_PGM_RSRC2:USER_SGPR: 6
; COMPUTE_PGM_RSRC2:TRAP_HANDLER: 0
; COMPUTE_PGM_RSRC2:TGID_X_EN: 1
; COMPUTE_PGM_RSRC2:TGID_Y_EN: 0
; COMPUTE_PGM_RSRC2:TGID_Z_EN: 0
; COMPUTE_PGM_RSRC2:TIDIG_COMP_CNT: 0
	.type	__hip_cuid_b2345b60bb2af960,@object ; @__hip_cuid_b2345b60bb2af960
	.section	.bss,"aw",@nobits
	.globl	__hip_cuid_b2345b60bb2af960
__hip_cuid_b2345b60bb2af960:
	.byte	0                               ; 0x0
	.size	__hip_cuid_b2345b60bb2af960, 1

	.ident	"AMD clang version 19.0.0git (https://github.com/RadeonOpenCompute/llvm-project roc-6.4.0 25133 c7fe45cf4b819c5991fe208aaa96edf142730f1d)"
	.section	".note.GNU-stack","",@progbits
	.addrsig
	.addrsig_sym __hip_cuid_b2345b60bb2af960
	.amdgpu_metadata
---
amdhsa.kernels:
  - .args:
      - .actual_access:  read_only
        .address_space:  global
        .offset:         0
        .size:           8
        .value_kind:     global_buffer
      - .actual_access:  read_only
        .address_space:  global
        .offset:         8
        .size:           8
        .value_kind:     global_buffer
      - .actual_access:  read_only
        .address_space:  global
        .offset:         16
        .size:           8
        .value_kind:     global_buffer
      - .actual_access:  read_only
        .address_space:  global
        .offset:         24
        .size:           8
        .value_kind:     global_buffer
      - .actual_access:  read_only
        .address_space:  global
        .offset:         32
        .size:           8
        .value_kind:     global_buffer
      - .offset:         40
        .size:           8
        .value_kind:     by_value
      - .address_space:  global
        .offset:         48
        .size:           8
        .value_kind:     global_buffer
      - .address_space:  global
        .offset:         56
        .size:           8
        .value_kind:     global_buffer
      - .address_space:  global
        .offset:         64
        .size:           8
        .value_kind:     global_buffer
      - .address_space:  global
        .offset:         72
        .size:           8
        .value_kind:     global_buffer
      - .offset:         80
        .size:           4
        .value_kind:     by_value
      - .address_space:  global
        .offset:         88
        .size:           8
        .value_kind:     global_buffer
      - .address_space:  global
        .offset:         96
        .size:           8
        .value_kind:     global_buffer
    .group_segment_fixed_size: 21840
    .kernarg_segment_align: 8
    .kernarg_segment_size: 104
    .language:       OpenCL C
    .language_version:
      - 2
      - 0
    .max_flat_workgroup_size: 182
    .name:           bluestein_single_back_len1365_dim1_sp_op_CI_CI
    .private_segment_fixed_size: 60
    .sgpr_count:     28
    .sgpr_spill_count: 0
    .symbol:         bluestein_single_back_len1365_dim1_sp_op_CI_CI.kd
    .uniform_work_group_size: 1
    .uses_dynamic_stack: false
    .vgpr_count:     256
    .vgpr_spill_count: 14
    .wavefront_size: 64
amdhsa.target:   amdgcn-amd-amdhsa--gfx906
amdhsa.version:
  - 1
  - 2
...

	.end_amdgpu_metadata
